;; amdgpu-corpus repo=ROCm/rocFFT kind=compiled arch=gfx950 opt=O3
	.text
	.amdgcn_target "amdgcn-amd-amdhsa--gfx950"
	.amdhsa_code_object_version 6
	.protected	bluestein_single_fwd_len182_dim1_sp_op_CI_CI ; -- Begin function bluestein_single_fwd_len182_dim1_sp_op_CI_CI
	.globl	bluestein_single_fwd_len182_dim1_sp_op_CI_CI
	.p2align	8
	.type	bluestein_single_fwd_len182_dim1_sp_op_CI_CI,@function
bluestein_single_fwd_len182_dim1_sp_op_CI_CI: ; @bluestein_single_fwd_len182_dim1_sp_op_CI_CI
; %bb.0:
	s_load_dwordx4 s[4:7], s[0:1], 0x28
	v_mul_u32_u24_e32 v1, 0x13b2, v0
	v_lshrrev_b32_e32 v2, 16, v1
	v_mov_b32_e32 v69, 0
	v_lshl_add_u32 v84, s2, 2, v2
	v_mov_b32_e32 v85, v69
	s_waitcnt lgkmcnt(0)
	v_cmp_gt_u64_e32 vcc, s[4:5], v[84:85]
	s_and_saveexec_b64 s[2:3], vcc
	s_cbranch_execz .LBB0_15
; %bb.1:
	s_load_dwordx4 s[12:15], s[0:1], 0x18
	s_load_dwordx2 s[2:3], s[0:1], 0x0
	v_mul_lo_u16_e32 v1, 13, v2
	v_sub_u16_e32 v72, v0, v1
	v_mov_b32_e32 v4, s6
	s_waitcnt lgkmcnt(0)
	s_load_dwordx4 s[8:11], s[12:13], 0x0
	v_mov_b32_e32 v5, s7
	v_mov_b32_e32 v3, 0x70
	v_lshlrev_b32_e32 v68, 3, v72
	v_or_b32_e32 v193, 0x70, v72
	s_waitcnt lgkmcnt(0)
	v_mad_u64_u32 v[0:1], s[4:5], s10, v84, 0
	v_mov_b32_e32 v6, v1
	v_mad_u64_u32 v[6:7], s[4:5], s11, v84, v[6:7]
	v_mov_b32_e32 v1, v6
	;; [unrolled: 2-line block ×4, first 2 shown]
	v_lshl_add_u64 v[0:1], v[0:1], 3, v[4:5]
	v_lshl_add_u64 v[4:5], v[6:7], 3, v[0:1]
	global_load_dwordx2 v[6:7], v[4:5], off
	v_mad_u64_u32 v[4:5], s[4:5], s8, v3, v[4:5]
	s_mul_i32 s6, s9, 0x70
	v_add_u32_e32 v5, s6, v5
	v_mad_u64_u32 v[8:9], s[4:5], s8, v3, v[4:5]
	v_add_u32_e32 v9, s6, v9
	v_mad_u64_u32 v[10:11], s[4:5], s8, v3, v[8:9]
	;; [unrolled: 2-line block ×3, first 2 shown]
	v_add_u32_e32 v13, s6, v13
	global_load_dwordx2 v[100:101], v68, s[2:3]
	global_load_dwordx2 v[98:99], v68, s[2:3] offset:112
	global_load_dwordx2 v[92:93], v68, s[2:3] offset:224
	;; [unrolled: 1-line block ×3, first 2 shown]
	global_load_dwordx2 v[14:15], v[4:5], off
	global_load_dwordx2 v[16:17], v[8:9], off
	;; [unrolled: 1-line block ×4, first 2 shown]
	v_mad_u64_u32 v[4:5], s[4:5], s8, v3, v[12:13]
	v_add_u32_e32 v5, s6, v5
	global_load_dwordx2 v[8:9], v[4:5], off
	v_mad_u64_u32 v[4:5], s[4:5], s8, v3, v[4:5]
	v_mad_u64_u32 v[22:23], s[4:5], s8, v193, 0
	v_add_u32_e32 v5, s6, v5
	v_mov_b32_e32 v24, v23
	global_load_dwordx2 v[10:11], v[4:5], off
	v_mad_u64_u32 v[4:5], s[4:5], s8, v3, v[4:5]
	v_mad_u64_u32 v[24:25], s[4:5], s9, v193, v[24:25]
	v_add_u32_e32 v5, s6, v5
	v_mov_b32_e32 v23, v24
	v_mov_b32_e32 v24, 0xe0
	global_load_dwordx2 v[96:97], v68, s[2:3] offset:448
	global_load_dwordx2 v[12:13], v[4:5], off
	global_load_dwordx2 v[94:95], v68, s[2:3] offset:560
	global_load_dwordx2 v[88:89], v68, s[2:3] offset:672
	;; [unrolled: 1-line block ×3, first 2 shown]
	v_mad_u64_u32 v[4:5], s[4:5], s8, v24, v[4:5]
	s_mul_i32 s4, s9, 0xe0
	v_lshl_add_u64 v[22:23], v[22:23], 3, v[0:1]
	v_add_u32_e32 v5, s4, v5
	global_load_dwordx2 v[22:23], v[22:23], off
	v_and_b32_e32 v2, 3, v2
	global_load_dwordx2 v[82:83], v68, s[2:3] offset:896
	global_load_dwordx2 v[24:25], v[4:5], off
	global_load_dwordx2 v[38:39], v68, s[2:3] offset:1008
	v_mad_u64_u32 v[4:5], s[4:5], s8, v3, v[4:5]
	v_add_u32_e32 v5, s6, v5
	global_load_dwordx2 v[26:27], v[4:5], off
	global_load_dwordx2 v[36:37], v68, s[2:3] offset:1120
	v_mad_u64_u32 v[4:5], s[4:5], s8, v3, v[4:5]
	v_add_u32_e32 v5, s6, v5
	;; [unrolled: 4-line block ×3, first 2 shown]
	global_load_dwordx2 v[30:31], v[4:5], off
	global_load_dwordx2 v[32:33], v68, s[2:3] offset:1344
	v_mul_u32_u24_e32 v191, 0xb6, v2
	v_lshlrev_b32_e32 v85, 3, v191
	v_add_u32_e32 v190, v85, v68
	s_load_dwordx2 s[10:11], s[0:1], 0x38
	s_load_dwordx4 s[4:7], s[14:15], 0x0
	v_cmp_eq_u16_e32 vcc, 0, v72
	s_waitcnt vmcnt(24)
	v_mul_f32_e32 v2, v7, v101
	v_mul_f32_e32 v3, v6, v101
	s_waitcnt vmcnt(20)
	v_mul_f32_e32 v4, v15, v99
	v_mul_f32_e32 v5, v14, v99
	v_fmac_f32_e32 v2, v6, v100
	v_fma_f32 v3, v7, v100, -v3
	v_fmac_f32_e32 v4, v14, v98
	v_fma_f32 v5, v15, v98, -v5
	ds_write2_b64 v190, v[2:3], v[4:5] offset1:14
	s_waitcnt vmcnt(19)
	v_mul_f32_e32 v2, v17, v93
	v_mul_f32_e32 v3, v16, v93
	s_waitcnt vmcnt(18)
	v_mul_f32_e32 v4, v19, v91
	v_mul_f32_e32 v5, v18, v91
	v_fmac_f32_e32 v2, v16, v92
	v_fma_f32 v3, v17, v92, -v3
	v_fmac_f32_e32 v4, v18, v90
	v_fma_f32 v5, v19, v90, -v5
	ds_write2_b64 v190, v[2:3], v[4:5] offset0:28 offset1:42
	s_waitcnt vmcnt(14)
	v_mul_f32_e32 v2, v21, v97
	v_mul_f32_e32 v3, v20, v97
	s_waitcnt vmcnt(12)
	v_mul_f32_e32 v4, v9, v95
	v_mul_f32_e32 v5, v8, v95
	v_fmac_f32_e32 v2, v20, v96
	v_fma_f32 v3, v21, v96, -v3
	v_fmac_f32_e32 v4, v8, v94
	v_fma_f32 v5, v9, v94, -v5
	ds_write2_b64 v190, v[2:3], v[4:5] offset0:56 offset1:70
	;; [unrolled: 11-line block ×4, first 2 shown]
	s_waitcnt vmcnt(4)
	v_mul_f32_e32 v2, v27, v37
	v_mul_f32_e32 v3, v26, v37
	s_waitcnt vmcnt(2)
	v_mul_f32_e32 v4, v29, v35
	v_mul_f32_e32 v5, v28, v35
	v_fmac_f32_e32 v2, v26, v36
	v_fma_f32 v3, v27, v36, -v3
	v_fmac_f32_e32 v4, v28, v34
	v_fma_f32 v5, v29, v34, -v5
	v_accvgpr_write_b32 a8, v40
	v_accvgpr_write_b32 a6, v38
	;; [unrolled: 1-line block ×4, first 2 shown]
	ds_write2_b64 v190, v[2:3], v[4:5] offset0:140 offset1:154
	s_waitcnt vmcnt(0)
	v_mul_f32_e32 v2, v31, v33
	v_mul_f32_e32 v3, v30, v33
	v_accvgpr_write_b32 a0, v32
	v_accvgpr_write_b32 a9, v41
	;; [unrolled: 1-line block ×5, first 2 shown]
	v_fmac_f32_e32 v2, v30, v32
	v_accvgpr_write_b32 a1, v33
	v_fma_f32 v3, v31, v32, -v3
	ds_write_b64 v190, v[2:3] offset:1344
	s_and_saveexec_b64 s[12:13], vcc
	s_cbranch_execz .LBB0_3
; %bb.2:
	v_mov_b32_e32 v2, 0x68
	v_mad_u64_u32 v[2:3], s[14:15], s8, v2, v[0:1]
	s_mul_i32 s14, s9, 0x68
	v_mov_b32_e32 v4, 0xd8
	v_add_u32_e32 v3, s14, v3
	v_mad_u64_u32 v[4:5], s[14:15], s8, v4, v[0:1]
	s_mul_i32 s14, s9, 0xd8
	v_mov_b32_e32 v6, 0x148
	v_add_u32_e32 v5, s14, v5
	v_mad_u64_u32 v[6:7], s[14:15], s8, v6, v[0:1]
	s_mul_i32 s14, s9, 0x148
	v_mov_b32_e32 v8, 0x1b8
	global_load_dwordx2 v[2:3], v[2:3], off
	v_add_u32_e32 v7, s14, v7
	global_load_dwordx2 v[4:5], v[4:5], off
	v_mad_u64_u32 v[8:9], s[14:15], s8, v8, v[0:1]
	global_load_dwordx2 v[6:7], v[6:7], off
	s_mul_i32 s14, s9, 0x1b8
	v_mov_b32_e32 v10, 0x228
	v_add_u32_e32 v9, s14, v9
	v_mad_u64_u32 v[10:11], s[14:15], s8, v10, v[0:1]
	s_mul_i32 s14, s9, 0x228
	global_load_dwordx2 v[8:9], v[8:9], off
	v_mov_b32_e32 v12, 0x298
	v_add_u32_e32 v11, s14, v11
	global_load_dwordx2 v[10:11], v[10:11], off
	v_mad_u64_u32 v[12:13], s[14:15], s8, v12, v[0:1]
	s_mul_i32 s14, s9, 0x298
	v_mov_b32_e32 v14, 0x308
	v_add_u32_e32 v13, s14, v13
	global_load_dwordx2 v[12:13], v[12:13], off
	v_mad_u64_u32 v[14:15], s[14:15], s8, v14, v[0:1]
	s_mul_i32 s14, s9, 0x308
	;; [unrolled: 5-line block ×3, first 2 shown]
	v_mov_b32_e32 v18, 0x3e8
	v_add_u32_e32 v17, s14, v17
	v_mad_u64_u32 v[18:19], s[14:15], s8, v18, v[0:1]
	global_load_dwordx2 v[16:17], v[16:17], off
	s_mul_i32 s14, s9, 0x3e8
	v_mov_b32_e32 v20, 0x458
	v_add_u32_e32 v19, s14, v19
	global_load_dwordx2 v[18:19], v[18:19], off
	v_mad_u64_u32 v[20:21], s[14:15], s8, v20, v[0:1]
	s_mul_i32 s14, s9, 0x458
	v_mov_b32_e32 v22, 0x4c8
	v_add_u32_e32 v21, s14, v21
	global_load_dwordx2 v[20:21], v[20:21], off
	v_mad_u64_u32 v[22:23], s[14:15], s8, v22, v[0:1]
	s_mul_i32 s14, s9, 0x4c8
	v_mov_b32_e32 v24, 0x538
	v_add_u32_e32 v23, s14, v23
	global_load_dwordx2 v[22:23], v[22:23], off
	v_mad_u64_u32 v[24:25], s[14:15], s8, v24, v[0:1]
	s_mul_i32 s14, s9, 0x538
	s_nop 0
	v_add_u32_e32 v25, s14, v25
	v_mov_b32_e32 v26, 0x5a8
	global_load_dwordx2 v[24:25], v[24:25], off
	v_mad_u64_u32 v[0:1], s[14:15], s8, v26, v[0:1]
	s_mul_i32 s8, s9, 0x5a8
	v_add_u32_e32 v1, s8, v1
	global_load_dwordx2 v[0:1], v[0:1], off
	s_load_dwordx2 s[8:9], s[2:3], 0x68
	s_load_dwordx2 s[14:15], s[2:3], 0xd8
	;; [unrolled: 1-line block ×4, first 2 shown]
	s_waitcnt vmcnt(12) lgkmcnt(0)
	v_mul_f32_e32 v26, s9, v3
	v_mul_f32_e32 v27, s9, v2
	v_fmac_f32_e32 v26, s8, v2
	v_fma_f32 v27, v3, s8, -v27
	s_waitcnt vmcnt(11)
	v_mul_f32_e32 v2, s15, v5
	v_mul_f32_e32 v3, s15, v4
	v_fmac_f32_e32 v2, s14, v4
	v_fma_f32 v3, v5, s14, -v3
	ds_write2_b64 v85, v[26:27], v[2:3] offset0:13 offset1:27
	s_waitcnt vmcnt(10)
	v_mul_f32_e32 v2, s17, v7
	v_mul_f32_e32 v3, s17, v6
	v_fmac_f32_e32 v2, s16, v6
	s_waitcnt vmcnt(9)
	v_mul_f32_e32 v4, s19, v9
	v_mul_f32_e32 v5, s19, v8
	v_fma_f32 v3, v7, s16, -v3
	v_fmac_f32_e32 v4, s18, v8
	v_fma_f32 v5, v9, s18, -v5
	s_load_dwordx2 s[8:9], s[2:3], 0x228
	ds_write2_b64 v85, v[2:3], v[4:5] offset0:41 offset1:55
	s_load_dwordx2 s[14:15], s[2:3], 0x298
	s_load_dwordx2 s[16:17], s[2:3], 0x308
	;; [unrolled: 1-line block ×3, first 2 shown]
	s_waitcnt vmcnt(8) lgkmcnt(0)
	v_mul_f32_e32 v2, s9, v11
	v_mul_f32_e32 v3, s9, v10
	s_waitcnt vmcnt(7)
	v_mul_f32_e32 v4, s15, v13
	v_mul_f32_e32 v5, s15, v12
	v_fmac_f32_e32 v2, s8, v10
	v_fma_f32 v3, v11, s8, -v3
	v_fmac_f32_e32 v4, s14, v12
	v_fma_f32 v5, v13, s14, -v5
	s_load_dwordx2 s[8:9], s[2:3], 0x3e8
	ds_write2_b64 v85, v[2:3], v[4:5] offset0:69 offset1:83
	s_waitcnt vmcnt(6)
	v_mul_f32_e32 v2, s17, v15
	v_mul_f32_e32 v3, s17, v14
	v_fmac_f32_e32 v2, s16, v14
	s_waitcnt vmcnt(5)
	v_mul_f32_e32 v4, s19, v17
	v_mul_f32_e32 v5, s19, v16
	v_fma_f32 v3, v15, s16, -v3
	v_fmac_f32_e32 v4, s18, v16
	v_fma_f32 v5, v17, s18, -v5
	ds_write2_b64 v85, v[2:3], v[4:5] offset0:97 offset1:111
	s_load_dwordx2 s[14:15], s[2:3], 0x458
	s_load_dwordx2 s[16:17], s[2:3], 0x4c8
	;; [unrolled: 1-line block ×3, first 2 shown]
	s_waitcnt vmcnt(4) lgkmcnt(0)
	v_mul_f32_e32 v2, s9, v19
	v_mul_f32_e32 v3, s9, v18
	v_fmac_f32_e32 v2, s8, v18
	v_fma_f32 v3, v19, s8, -v3
	s_load_dwordx2 s[8:9], s[2:3], 0x5a8
	s_waitcnt vmcnt(3)
	v_mul_f32_e32 v4, s15, v21
	v_mul_f32_e32 v5, s15, v20
	v_fmac_f32_e32 v4, s14, v20
	v_fma_f32 v5, v21, s14, -v5
	ds_write2_b64 v85, v[2:3], v[4:5] offset0:125 offset1:139
	s_waitcnt vmcnt(2)
	v_mul_f32_e32 v2, s17, v23
	v_mul_f32_e32 v3, s17, v22
	v_fmac_f32_e32 v2, s16, v22
	v_fma_f32 v3, v23, s16, -v3
	s_waitcnt vmcnt(1)
	v_mul_f32_e32 v4, s19, v25
	v_mul_f32_e32 v5, s19, v24
	v_fmac_f32_e32 v4, s18, v24
	v_fma_f32 v5, v25, s18, -v5
	ds_write2_b64 v85, v[2:3], v[4:5] offset0:153 offset1:167
	s_waitcnt vmcnt(0) lgkmcnt(0)
	v_mul_f32_e32 v2, s9, v1
	v_fmac_f32_e32 v2, s8, v0
	v_mul_f32_e32 v0, s9, v0
	v_fma_f32 v3, v1, s8, -v0
	ds_write_b64 v85, v[2:3] offset:1448
.LBB0_3:
	s_or_b64 exec, exec, s[12:13]
	s_waitcnt lgkmcnt(0)
	; wave barrier
	s_waitcnt lgkmcnt(0)
	ds_read2_b64 v[24:27], v190 offset1:14
	ds_read2_b64 v[52:55], v190 offset0:28 offset1:42
	ds_read2_b64 v[64:67], v190 offset0:56 offset1:70
	;; [unrolled: 1-line block ×5, first 2 shown]
	ds_read_b64 v[102:103], v190 offset:1344
	s_load_dwordx2 s[0:1], s[0:1], 0x8
	v_mov_b64_e32 v[20:21], 0
                                        ; implicit-def: $vgpr30
                                        ; implicit-def: $vgpr36
                                        ; implicit-def: $vgpr34
                                        ; implicit-def: $vgpr44
                                        ; implicit-def: $vgpr42
                                        ; implicit-def: $vgpr70
	s_and_saveexec_b64 s[8:9], vcc
	s_cbranch_execz .LBB0_5
; %bb.4:
	ds_read2_b64 v[20:23], v85 offset0:13 offset1:27
	ds_read2_b64 v[40:43], v85 offset0:41 offset1:55
	;; [unrolled: 1-line block ×6, first 2 shown]
	ds_read_b64 v[70:71], v85 offset:1448
.LBB0_5:
	s_or_b64 exec, exec, s[8:9]
	s_waitcnt lgkmcnt(0)
	v_pk_add_f32 v[118:119], v[22:23], v[70:71] neg_lo:[0,1] neg_hi:[0,1]
	s_mov_b32 s8, 0xbf52af12
	v_pk_add_f32 v[110:111], v[70:71], v[22:23]
	v_pk_add_f32 v[116:117], v[40:41], v[46:47] neg_lo:[0,1] neg_hi:[0,1]
	s_mov_b32 s24, 0x3f116cb1
	v_pk_mul_f32 v[0:1], v[118:119], s[8:9] op_sel_hi:[1,0]
	s_mov_b32 s12, 0xbf6f5d39
	v_pk_add_f32 v[108:109], v[46:47], v[40:41]
	v_pk_add_f32 v[114:115], v[42:43], v[44:45] neg_lo:[0,1] neg_hi:[0,1]
	v_pk_fma_f32 v[4:5], v[110:111], s[24:25], v[0:1] op_sel:[0,0,1] op_sel_hi:[1,0,0]
	v_pk_fma_f32 v[0:1], v[110:111], s[24:25], v[0:1] op_sel:[0,0,1] op_sel_hi:[1,0,0] neg_lo:[0,0,1] neg_hi:[0,0,1]
	s_mov_b32 s22, 0xbeb58ec6
	v_pk_mul_f32 v[2:3], v[116:117], s[12:13] op_sel:[1,0] op_sel_hi:[0,0]
	s_mov_b32 s14, 0xbe750f2a
	v_pk_add_f32 v[106:107], v[44:45], v[42:43]
	v_mov_b32_e32 v7, v1
	v_pk_fma_f32 v[8:9], v[108:109], s[22:23], v[2:3] op_sel_hi:[1,0,1]
	v_pk_fma_f32 v[2:3], v[108:109], s[22:23], v[2:3] op_sel_hi:[1,0,1] neg_lo:[0,0,1] neg_hi:[0,0,1]
	s_mov_b32 s26, 0xbf788fa5
	v_pk_mul_f32 v[14:15], v[114:115], s[14:15] op_sel:[1,0] op_sel_hi:[0,0]
	v_mov_b32_e32 v1, v5
	v_pk_add_f32 v[112:113], v[32:33], v[38:39] neg_lo:[0,1] neg_hi:[0,1]
	v_mov_b32_e32 v11, v3
	v_pk_fma_f32 v[12:13], v[106:107], s[26:27], v[14:15] op_sel_hi:[1,0,1]
	v_pk_fma_f32 v[16:17], v[106:107], s[26:27], v[14:15] op_sel_hi:[1,0,1] neg_lo:[0,0,1] neg_hi:[0,0,1]
	s_mov_b32 s16, 0x3f29c268
	v_pk_add_f32 v[0:1], v[0:1], v[20:21]
	v_mov_b32_e32 v3, v9
	v_pk_add_f32 v[104:105], v[38:39], v[32:33]
	v_mov_b32_e32 v15, v17
	s_mov_b32 s28, 0xbf3f9e67
	v_pk_add_f32 v[0:1], v[2:3], v[0:1]
	v_pk_mul_f32 v[2:3], v[112:113], s[16:17] op_sel:[1,0] op_sel_hi:[0,0]
	v_mov_b32_e32 v17, v13
	v_pk_add_f32 v[0:1], v[16:17], v[0:1]
	v_pk_fma_f32 v[16:17], v[104:105], s[28:29], v[2:3] op_sel_hi:[1,0,1] neg_lo:[0,0,1] neg_hi:[0,0,1]
	v_pk_fma_f32 v[18:19], v[104:105], s[28:29], v[2:3] op_sel_hi:[1,0,1]
	v_mov_b32_e32 v2, v16
	v_mov_b32_e32 v3, v19
	s_mov_b32 s38, 0x3df6dbef
	v_pk_add_f32 v[120:121], v[36:37], v[34:35]
	v_pk_add_f32 v[0:1], v[2:3], v[0:1]
	s_mov_b32 s18, 0x3f7e222b
	v_pk_add_f32 v[122:123], v[34:35], v[36:37] neg_lo:[0,1] neg_hi:[0,1]
	v_pk_mul_f32 v[2:3], v[120:121], s[38:39] op_sel_hi:[1,0]
	s_mov_b32 s20, 0xbf7e222b
	v_pk_fma_f32 v[124:125], v[122:123], s[18:19], v[2:3] op_sel:[1,0,0] op_sel_hi:[0,0,1] neg_lo:[1,0,0] neg_hi:[1,0,0]
	v_pk_fma_f32 v[126:127], v[122:123], s[18:19], v[2:3] op_sel:[1,0,0] op_sel_hi:[0,0,1]
	v_mov_b32_e32 v2, v124
	v_mov_b32_e32 v3, v127
	v_pk_mul_f32 v[130:131], v[118:119], s[20:21] op_sel_hi:[1,0]
	v_pk_add_f32 v[0:1], v[2:3], v[0:1]
	v_pk_mul_f32 v[2:3], v[116:117], s[14:15] op_sel:[1,0] op_sel_hi:[0,0]
	v_pk_fma_f32 v[132:133], v[110:111], s[38:39], v[130:131] op_sel:[0,0,1] op_sel_hi:[1,0,0] neg_lo:[0,0,1] neg_hi:[0,0,1]
	v_pk_fma_f32 v[130:131], v[110:111], s[38:39], v[130:131] op_sel:[0,0,1] op_sel_hi:[1,0,0]
	v_pk_fma_f32 v[128:129], v[108:109], s[26:27], v[2:3] op_sel_hi:[1,0,1]
	v_pk_fma_f32 v[2:3], v[108:109], s[26:27], v[2:3] op_sel_hi:[1,0,1] neg_lo:[0,0,1] neg_hi:[0,0,1]
	v_mov_b32_e32 v134, v132
	v_mov_b32_e32 v135, v131
	v_pk_add_f32 v[134:135], v[134:135], v[20:21]
	v_mov_b32_e32 v5, v3
	v_mov_b32_e32 v3, v129
	s_mov_b32 s36, 0x3f6f5d39
	v_pk_add_f32 v[2:3], v[2:3], v[134:135]
	v_pk_mul_f32 v[134:135], v[114:115], s[36:37] op_sel:[1,0] op_sel_hi:[0,0]
	v_pk_fma_f32 v[136:137], v[106:107], s[22:23], v[134:135] op_sel_hi:[1,0,1]
	v_pk_fma_f32 v[134:135], v[106:107], s[22:23], v[134:135] op_sel_hi:[1,0,1] neg_lo:[0,0,1] neg_hi:[0,0,1]
	v_mov_b32_e32 v6, v4
	v_mov_b32_e32 v9, v135
	;; [unrolled: 1-line block ×3, first 2 shown]
	s_mov_b32 s34, 0x3eedf032
	v_mov_b32_e32 v10, v8
	v_pk_add_f32 v[6:7], v[6:7], v[20:21]
	v_mov_b32_e32 v131, v133
	v_pk_add_f32 v[2:3], v[134:135], v[2:3]
	s_mov_b32 s42, 0x3f62ad3f
	v_pk_mul_f32 v[134:135], v[112:113], s[34:35] op_sel:[1,0] op_sel_hi:[0,0]
	v_pk_add_f32 v[6:7], v[10:11], v[6:7]
	v_mov_b32_e32 v4, v128
	v_pk_add_f32 v[10:11], v[130:131], v[20:21]
	v_pk_fma_f32 v[138:139], v[104:105], s[42:43], v[134:135] op_sel_hi:[1,0,1]
	v_pk_fma_f32 v[134:135], v[104:105], s[42:43], v[134:135] op_sel_hi:[1,0,1] neg_lo:[0,0,1] neg_hi:[0,0,1]
	s_mov_b32 s30, 0xbf29c268
	v_mov_b32_e32 v8, v136
	v_pk_add_f32 v[4:5], v[4:5], v[10:11]
	v_mov_b32_e32 v13, v135
	v_mov_b32_e32 v14, v12
	;; [unrolled: 1-line block ×3, first 2 shown]
	v_pk_add_f32 v[4:5], v[8:9], v[4:5]
	v_pk_mul_f32 v[8:9], v[118:119], s[30:31] op_sel_hi:[1,0]
	v_pk_add_f32 v[6:7], v[14:15], v[6:7]
	v_mov_b32_e32 v19, v17
	v_pk_add_f32 v[4:5], v[12:13], v[4:5]
	v_pk_fma_f32 v[12:13], v[110:111], s[28:29], v[8:9] op_sel:[0,0,1] op_sel_hi:[1,0,0] neg_lo:[0,0,1] neg_hi:[0,0,1]
	v_pk_fma_f32 v[14:15], v[110:111], s[28:29], v[8:9] op_sel:[0,0,1] op_sel_hi:[1,0,0]
	v_pk_mul_f32 v[10:11], v[116:117], s[18:19] op_sel:[1,0] op_sel_hi:[0,0]
	v_pk_add_f32 v[6:7], v[18:19], v[6:7]
	v_mov_b32_e32 v8, v12
	v_mov_b32_e32 v9, v15
	v_pk_fma_f32 v[16:17], v[108:109], s[38:39], v[10:11] op_sel_hi:[1,0,1] neg_lo:[0,0,1] neg_hi:[0,0,1]
	v_pk_fma_f32 v[18:19], v[108:109], s[38:39], v[10:11] op_sel_hi:[1,0,1]
	v_mov_b32_e32 v10, v16
	v_mov_b32_e32 v11, v19
	v_pk_add_f32 v[8:9], v[8:9], v[20:21]
	v_mov_b32_e32 v135, v139
	v_mov_b32_e32 v127, v125
	v_pk_add_f32 v[8:9], v[10:11], v[8:9]
	v_pk_mul_f32 v[10:11], v[114:115], s[8:9] op_sel:[1,0] op_sel_hi:[0,0]
	v_pk_add_f32 v[2:3], v[134:135], v[2:3]
	v_pk_mul_f32 v[134:135], v[122:123], s[8:9] op_sel:[1,0] op_sel_hi:[0,0]
	v_pk_add_f32 v[6:7], v[126:127], v[6:7]
	v_pk_fma_f32 v[124:125], v[106:107], s[24:25], v[10:11] op_sel_hi:[1,0,1] neg_lo:[0,0,1] neg_hi:[0,0,1]
	v_pk_fma_f32 v[126:127], v[106:107], s[24:25], v[10:11] op_sel_hi:[1,0,1]
	v_mov_b32_e32 v15, v13
	v_pk_fma_f32 v[140:141], v[120:121], s[24:25], v[134:135] op_sel_hi:[1,0,1]
	v_pk_fma_f32 v[134:135], v[120:121], s[24:25], v[134:135] op_sel_hi:[1,0,1] neg_lo:[0,0,1] neg_hi:[0,0,1]
	v_mov_b32_e32 v10, v124
	v_mov_b32_e32 v11, v127
	s_mov_b32 s40, 0x3e750f2a
	v_mov_b32_e32 v19, v17
	v_pk_add_f32 v[12:13], v[14:15], v[20:21]
	v_mov_b32_e32 v129, v135
	v_mov_b32_e32 v128, v140
	v_pk_add_f32 v[8:9], v[10:11], v[8:9]
	v_pk_mul_f32 v[10:11], v[112:113], s[40:41] op_sel:[1,0] op_sel_hi:[0,0]
	v_pk_add_f32 v[12:13], v[18:19], v[12:13]
	v_mov_b32_e32 v127, v125
	v_pk_mul_f32 v[16:17], v[118:119], s[14:15] op_sel_hi:[1,0]
	v_mov_b32_e32 v135, v141
	v_pk_add_f32 v[4:5], v[128:129], v[4:5]
	v_pk_fma_f32 v[128:129], v[104:105], s[26:27], v[10:11] op_sel_hi:[1,0,1] neg_lo:[0,0,1] neg_hi:[0,0,1]
	v_pk_fma_f32 v[130:131], v[104:105], s[26:27], v[10:11] op_sel_hi:[1,0,1]
	v_pk_add_f32 v[12:13], v[126:127], v[12:13]
	v_pk_fma_f32 v[18:19], v[110:111], s[26:27], v[16:17] op_sel:[0,0,1] op_sel_hi:[1,0,0] neg_lo:[0,0,1] neg_hi:[0,0,1]
	v_pk_fma_f32 v[16:17], v[110:111], s[26:27], v[16:17] op_sel:[0,0,1] op_sel_hi:[1,0,0]
	v_pk_mul_f32 v[126:127], v[116:117], s[34:35] op_sel:[1,0] op_sel_hi:[0,0]
	v_pk_add_f32 v[2:3], v[134:135], v[2:3]
	v_pk_add_f32 v[134:135], v[30:31], v[28:29]
	v_mov_b32_e32 v10, v128
	v_mov_b32_e32 v11, v131
	;; [unrolled: 1-line block ×4, first 2 shown]
	v_pk_fma_f32 v[128:129], v[108:109], s[42:43], v[126:127] op_sel_hi:[1,0,1] neg_lo:[0,0,1] neg_hi:[0,0,1]
	v_pk_fma_f32 v[126:127], v[108:109], s[42:43], v[126:127] op_sel_hi:[1,0,1]
	v_mov_b32_e32 v17, v19
	v_pk_add_f32 v[146:147], v[28:29], v[30:31] neg_lo:[0,1] neg_hi:[0,1]
	v_pk_mul_f32 v[142:143], v[134:135], s[42:43] op_sel_hi:[1,0]
	v_pk_add_f32 v[8:9], v[10:11], v[8:9]
	v_pk_mul_f32 v[10:11], v[118:119], s[12:13] op_sel_hi:[1,0]
	v_pk_add_f32 v[12:13], v[130:131], v[12:13]
	v_mov_b32_e32 v124, v18
	v_mov_b32_e32 v131, v127
	;; [unrolled: 1-line block ×3, first 2 shown]
	v_pk_add_f32 v[16:17], v[16:17], v[20:21]
	v_pk_mul_f32 v[18:19], v[114:115], s[30:31] op_sel:[1,0] op_sel_hi:[0,0]
	v_pk_fma_f32 v[144:145], v[146:147], s[34:35], v[142:143] op_sel:[1,0,0] op_sel_hi:[0,0,1] neg_lo:[1,0,0] neg_hi:[1,0,0]
	v_pk_fma_f32 v[142:143], v[146:147], s[34:35], v[142:143] op_sel:[1,0,0] op_sel_hi:[0,0,1]
	v_pk_fma_f32 v[132:133], v[110:111], s[22:23], v[10:11] op_sel:[0,0,1] op_sel_hi:[1,0,0] neg_lo:[0,0,1] neg_hi:[0,0,1]
	v_pk_fma_f32 v[136:137], v[110:111], s[22:23], v[10:11] op_sel:[0,0,1] op_sel_hi:[1,0,0]
	v_pk_mul_f32 v[138:139], v[116:117], s[16:17] op_sel:[1,0] op_sel_hi:[0,0]
	v_pk_add_f32 v[16:17], v[126:127], v[16:17]
	v_pk_fma_f32 v[126:127], v[106:107], s[28:29], v[18:19] op_sel_hi:[1,0,1] neg_lo:[0,0,1] neg_hi:[0,0,1]
	v_pk_fma_f32 v[18:19], v[106:107], s[28:29], v[18:19] op_sel_hi:[1,0,1]
	v_mov_b32_e32 v148, v144
	v_mov_b32_e32 v149, v143
	;; [unrolled: 1-line block ×5, first 2 shown]
	v_pk_fma_f32 v[140:141], v[108:109], s[28:29], v[138:139] op_sel_hi:[1,0,1] neg_lo:[0,0,1] neg_hi:[0,0,1]
	v_pk_fma_f32 v[138:139], v[108:109], s[28:29], v[138:139] op_sel_hi:[1,0,1]
	v_mov_b32_e32 v129, v19
	v_mov_b32_e32 v19, v127
	v_pk_add_f32 v[0:1], v[148:149], v[0:1]
	v_pk_mul_f32 v[148:149], v[146:147], s[30:31] op_sel:[1,0] op_sel_hi:[0,0]
	v_pk_add_f32 v[6:7], v[142:143], v[6:7]
	v_mov_b32_e32 v142, v140
	v_mov_b32_e32 v143, v139
	v_pk_add_f32 v[10:11], v[10:11], v[20:21]
	s_mov_b32 s44, 0x3f52af12
	v_mov_b32_e32 v130, v128
	v_pk_add_f32 v[124:125], v[124:125], v[20:21]
	v_pk_add_f32 v[16:17], v[18:19], v[16:17]
	v_pk_mul_f32 v[18:19], v[104:105], s[24:25] op_sel_hi:[1,0]
	v_pk_fma_f32 v[150:151], v[134:135], s[28:29], v[148:149] op_sel_hi:[1,0,1] neg_lo:[0,0,1] neg_hi:[0,0,1]
	v_pk_fma_f32 v[148:149], v[134:135], s[28:29], v[148:149] op_sel_hi:[1,0,1]
	v_pk_add_f32 v[10:11], v[142:143], v[10:11]
	v_pk_mul_f32 v[142:143], v[114:115], s[34:35] op_sel:[1,0] op_sel_hi:[0,0]
	v_pk_add_f32 v[124:125], v[130:131], v[124:125]
	v_mov_b32_e32 v128, v126
	v_pk_fma_f32 v[126:127], v[112:113], s[44:45], v[18:19] op_sel:[1,0,0] op_sel_hi:[0,0,1] neg_lo:[1,0,0] neg_hi:[1,0,0]
	v_pk_fma_f32 v[18:19], v[112:113], s[44:45], v[18:19] op_sel:[1,0,0] op_sel_hi:[0,0,1]
	v_mov_b32_e32 v153, v149
	v_mov_b32_e32 v149, v151
	v_pk_fma_f32 v[144:145], v[106:107], s[42:43], v[142:143] op_sel_hi:[1,0,1]
	v_pk_fma_f32 v[142:143], v[106:107], s[42:43], v[142:143] op_sel_hi:[1,0,1] neg_lo:[0,0,1] neg_hi:[0,0,1]
	v_pk_add_f32 v[124:125], v[128:129], v[124:125]
	v_mov_b32_e32 v129, v127
	v_mov_b32_e32 v127, v19
	v_pk_add_f32 v[4:5], v[148:149], v[4:5]
	v_mov_b32_e32 v149, v143
	v_mov_b32_e32 v143, v145
	v_mov_b32_e32 v128, v18
	v_pk_add_f32 v[18:19], v[126:127], v[124:125]
	v_pk_mul_f32 v[124:125], v[120:121], s[22:23] op_sel_hi:[1,0]
	v_pk_add_f32 v[10:11], v[142:143], v[10:11]
	v_pk_mul_f32 v[142:143], v[112:113], s[20:21] op_sel:[1,0] op_sel_hi:[0,0]
	v_pk_fma_f32 v[126:127], v[122:123], s[12:13], v[124:125] op_sel:[1,0,0] op_sel_hi:[0,0,1] neg_lo:[1,0,0] neg_hi:[1,0,0]
	v_pk_fma_f32 v[124:125], v[122:123], s[12:13], v[124:125] op_sel:[1,0,0] op_sel_hi:[0,0,1]
	v_mov_b32_e32 v152, v150
	v_pk_fma_f32 v[150:151], v[104:105], s[38:39], v[142:143] op_sel_hi:[1,0,1]
	v_pk_fma_f32 v[142:143], v[104:105], s[38:39], v[142:143] op_sel_hi:[1,0,1] neg_lo:[0,0,1] neg_hi:[0,0,1]
	v_pk_add_f32 v[16:17], v[128:129], v[16:17]
	v_mov_b32_e32 v129, v125
	v_mov_b32_e32 v125, v127
	;; [unrolled: 1-line block ×5, first 2 shown]
	v_pk_add_f32 v[124:125], v[124:125], v[16:17]
	v_pk_mul_f32 v[16:17], v[146:147], s[18:19] op_sel:[1,0] op_sel_hi:[0,0]
	v_pk_add_f32 v[10:11], v[142:143], v[10:11]
	v_pk_mul_f32 v[142:143], v[122:123], s[40:41] op_sel:[1,0] op_sel_hi:[0,0]
	v_pk_add_f32 v[18:19], v[128:129], v[18:19]
	v_pk_fma_f32 v[126:127], v[134:135], s[38:39], v[16:17] op_sel_hi:[1,0,1] neg_lo:[0,0,1] neg_hi:[0,0,1]
	v_pk_fma_f32 v[128:129], v[134:135], s[38:39], v[16:17] op_sel_hi:[1,0,1]
	v_pk_add_f32 v[2:3], v[152:153], v[2:3]
	v_pk_fma_f32 v[152:153], v[120:121], s[26:27], v[142:143] op_sel_hi:[1,0,1] neg_lo:[0,0,1] neg_hi:[0,0,1]
	v_pk_fma_f32 v[142:143], v[120:121], s[26:27], v[142:143] op_sel_hi:[1,0,1]
	v_mov_b32_e32 v16, v126
	v_mov_b32_e32 v17, v129
	;; [unrolled: 1-line block ×6, first 2 shown]
	v_pk_add_f32 v[16:17], v[16:17], v[18:19]
	v_pk_add_f32 v[18:19], v[128:129], v[124:125]
	;; [unrolled: 1-line block ×4, first 2 shown]
	v_pk_mul_f32 v[154:155], v[120:121], s[42:43] op_sel_hi:[1,0]
	v_mov_b32_e32 v139, v141
	v_pk_add_f32 v[14:15], v[136:137], v[20:21]
	v_pk_add_f32 v[124:125], v[124:125], v[52:53]
	v_pk_fma_f32 v[156:157], v[122:123], s[34:35], v[154:155] op_sel:[1,0,0] op_sel_hi:[0,0,1] neg_lo:[1,0,0] neg_hi:[1,0,0]
	v_pk_fma_f32 v[154:155], v[122:123], s[34:35], v[154:155] op_sel:[1,0,0] op_sel_hi:[0,0,1]
	v_mov_b32_e32 v148, v144
	v_pk_add_f32 v[14:15], v[138:139], v[14:15]
	v_pk_add_f32 v[124:125], v[124:125], v[54:55]
	v_mov_b32_e32 v158, v156
	v_mov_b32_e32 v159, v155
	;; [unrolled: 1-line block ×3, first 2 shown]
	v_pk_add_f32 v[14:15], v[148:149], v[14:15]
	v_pk_add_f32 v[124:125], v[124:125], v[64:65]
	;; [unrolled: 1-line block ×3, first 2 shown]
	v_pk_mul_f32 v[8:9], v[134:135], s[24:25] op_sel_hi:[1,0]
	v_pk_add_f32 v[14:15], v[144:145], v[14:15]
	v_mov_b32_e32 v143, v153
	v_pk_add_f32 v[124:125], v[124:125], v[66:67]
	v_pk_fma_f32 v[160:161], v[146:147], s[44:45], v[8:9] op_sel:[1,0,0] op_sel_hi:[0,0,1] neg_lo:[1,0,0] neg_hi:[1,0,0]
	v_pk_fma_f32 v[162:163], v[146:147], s[44:45], v[8:9] op_sel:[1,0,0] op_sel_hi:[0,0,1]
	v_pk_add_f32 v[14:15], v[142:143], v[14:15]
	v_pk_add_f32 v[142:143], v[62:63], v[64:65]
	v_pk_add_f32 v[126:127], v[64:65], v[62:63] neg_lo:[0,1] neg_hi:[0,1]
	v_pk_add_f32 v[64:65], v[124:125], v[48:49]
	v_mov_b32_e32 v8, v160
	v_mov_b32_e32 v9, v163
	v_pk_add_f32 v[64:65], v[64:65], v[50:51]
	v_pk_add_f32 v[8:9], v[8:9], v[10:11]
	v_pk_mul_f32 v[10:11], v[134:135], s[22:23] op_sel_hi:[1,0]
	v_pk_add_f32 v[140:141], v[60:61], v[66:67]
	v_pk_add_f32 v[130:131], v[66:67], v[60:61] neg_lo:[0,1] neg_hi:[0,1]
	v_pk_add_f32 v[60:61], v[64:65], v[60:61]
	v_pk_fma_f32 v[164:165], v[146:147], s[12:13], v[10:11] op_sel:[1,0,0] op_sel_hi:[0,0,1] neg_lo:[1,0,0] neg_hi:[1,0,0]
	v_pk_fma_f32 v[166:167], v[146:147], s[12:13], v[10:11] op_sel:[1,0,0] op_sel_hi:[0,0,1]
	v_pk_add_f32 v[60:61], v[60:61], v[62:63]
	v_mov_b32_e32 v10, v164
	v_mov_b32_e32 v11, v167
	;; [unrolled: 1-line block ×3, first 2 shown]
	v_pk_add_f32 v[164:165], v[58:59], v[52:53]
	v_pk_add_f32 v[124:125], v[52:53], v[58:59] neg_lo:[0,1] neg_hi:[0,1]
	v_pk_add_f32 v[52:53], v[60:61], v[56:57]
	v_pk_add_f32 v[10:11], v[10:11], v[158:159]
	;; [unrolled: 1-line block ×3, first 2 shown]
	v_pk_mul_f32 v[52:53], v[116:117], s[8:9] op_sel:[1,0] op_sel_hi:[0,0]
	v_pk_fma_f32 v[62:63], v[108:109], s[24:25], v[52:53] op_sel_hi:[1,0,1]
	v_pk_fma_f32 v[60:61], v[108:109], s[24:25], v[52:53] op_sel_hi:[1,0,1] neg_lo:[0,0,1] neg_hi:[0,0,1]
	v_pk_mul_f32 v[52:53], v[114:115], s[20:21] op_sel:[1,0] op_sel_hi:[0,0]
	v_pk_fma_f32 v[64:65], v[106:107], s[38:39], v[52:53] op_sel_hi:[1,0,1]
	v_pk_fma_f32 v[66:67], v[106:107], s[38:39], v[52:53] op_sel_hi:[1,0,1] neg_lo:[0,0,1] neg_hi:[0,0,1]
	v_pk_mul_f32 v[52:53], v[112:113], s[12:13] op_sel:[1,0] op_sel_hi:[0,0]
	v_pk_add_f32 v[158:159], v[56:57], v[54:55]
	v_pk_add_f32 v[132:133], v[54:55], v[56:57] neg_lo:[0,1] neg_hi:[0,1]
	s_mov_b32 s46, 0xbeedf032
	v_pk_fma_f32 v[106:107], v[104:105], s[22:23], v[52:53] op_sel_hi:[1,0,1]
	v_pk_fma_f32 v[104:105], v[104:105], s[22:23], v[52:53] op_sel_hi:[1,0,1] neg_lo:[0,0,1] neg_hi:[0,0,1]
	v_pk_mul_f32 v[52:53], v[122:123], s[30:31] op_sel:[1,0] op_sel_hi:[0,0]
	v_pk_mul_f32 v[54:55], v[134:135], s[26:27] op_sel_hi:[1,0]
	v_pk_add_f32 v[144:145], v[50:51], v[48:49]
	v_pk_add_f32 v[136:137], v[48:49], v[50:51] neg_lo:[0,1] neg_hi:[0,1]
	v_pk_mul_f32 v[48:49], v[118:119], s[46:47] op_sel_hi:[1,0]
	v_pk_fma_f32 v[56:57], v[120:121], s[28:29], v[52:53] op_sel_hi:[1,0,1] neg_lo:[0,0,1] neg_hi:[0,0,1]
	v_pk_fma_f32 v[58:59], v[120:121], s[28:29], v[52:53] op_sel_hi:[1,0,1]
	v_pk_fma_f32 v[52:53], v[146:147], s[14:15], v[54:55] op_sel:[1,0,0] op_sel_hi:[0,0,1] neg_lo:[1,0,0] neg_hi:[1,0,0]
	v_pk_fma_f32 v[54:55], v[146:147], s[14:15], v[54:55] op_sel:[1,0,0] op_sel_hi:[0,0,1]
	v_pk_add_f32 v[146:147], v[128:129], v[102:103]
	v_pk_add_f32 v[174:175], v[102:103], v[26:27]
	v_pk_add_f32 v[102:103], v[26:27], v[102:103] neg_lo:[0,1] neg_hi:[0,1]
	v_pk_fma_f32 v[50:51], v[110:111], s[42:43], v[48:49] op_sel:[0,0,1] op_sel_hi:[1,0,0]
	v_pk_fma_f32 v[48:49], v[110:111], s[42:43], v[48:49] op_sel:[0,0,1] op_sel_hi:[1,0,0] neg_lo:[0,0,1] neg_hi:[0,0,1]
	v_mov_b32_e32 v27, v175
	v_mov_b32_e32 v175, v102
	s_mov_b32 s43, s46
	v_mov_b32_e32 v26, v103
	s_mov_b32 s47, s42
	v_pk_mul_f32 v[128:129], v[174:175], s[42:43]
	v_mov_b32_e32 v103, v165
	v_mov_b32_e32 v165, v124
	v_pk_fma_f32 v[108:109], v[26:27], s[46:47], v[128:129] neg_lo:[1,0,0] neg_hi:[1,0,0]
	v_pk_fma_f32 v[114:115], v[26:27], s[46:47], v[128:129]
	s_mov_b32 s25, s8
	v_mov_b32_e32 v102, v125
	v_mov_b32_e32 v109, v115
	s_mov_b32 s9, s24
	v_pk_mul_f32 v[110:111], v[164:165], s[24:25]
	v_pk_add_f32 v[112:113], v[24:25], v[108:109]
	v_pk_fma_f32 v[116:117], v[102:103], s[8:9], v[110:111] neg_lo:[1,0,0] neg_hi:[1,0,0]
	v_pk_fma_f32 v[108:109], v[102:103], s[8:9], v[110:111]
	s_mov_b32 s39, s20
	v_mov_b32_e32 v117, v109
	v_pk_add_f32 v[120:121], v[116:117], v[112:113]
	v_mov_b32_e32 v113, v159
	v_mov_b32_e32 v159, v132
	;; [unrolled: 1-line block ×3, first 2 shown]
	s_mov_b32 s21, s38
	v_pk_mul_f32 v[118:119], v[158:159], s[38:39]
	s_mov_b32 s23, s12
	v_pk_fma_f32 v[122:123], v[112:113], s[20:21], v[118:119] neg_lo:[1,0,0] neg_hi:[1,0,0]
	v_pk_fma_f32 v[116:117], v[112:113], s[20:21], v[118:119]
	s_mov_b32 s13, s22
	v_mov_b32_e32 v123, v117
	v_pk_add_f32 v[132:133], v[122:123], v[120:121]
	v_mov_b32_e32 v121, v143
	v_mov_b32_e32 v143, v126
	v_mov_b32_e32 v120, v127
	v_pk_mul_f32 v[124:125], v[142:143], s[22:23]
	s_mov_b32 s29, s30
	v_pk_fma_f32 v[126:127], v[120:121], s[12:13], v[124:125] neg_lo:[1,0,0] neg_hi:[1,0,0]
	v_pk_fma_f32 v[122:123], v[120:121], s[12:13], v[124:125]
	s_mov_b32 s31, s28
	v_mov_b32_e32 v127, v123
	v_pk_add_f32 v[134:135], v[126:127], v[132:133]
	v_mov_b32_e32 v127, v141
	v_mov_b32_e32 v141, v130
	v_mov_b32_e32 v126, v131
	;; [unrolled: 10-line block ×3, first 2 shown]
	v_pk_mul_f32 v[138:139], v[144:145], s[26:27]
	v_accvgpr_write_b32 a10, v72
	v_pk_fma_f32 v[150:151], v[134:135], s[14:15], v[138:139] neg_lo:[1,0,0] neg_hi:[1,0,0]
	v_pk_fma_f32 v[136:137], v[134:135], s[14:15], v[138:139]
	v_mul_lo_u16_e32 v72, 13, v72
	v_mov_b32_e32 v151, v137
	v_pk_add_f32 v[148:149], v[150:151], v[148:149]
	v_lshl_add_u32 v192, v72, 3, v85
	s_waitcnt lgkmcnt(0)
	; wave barrier
	ds_write2_b64 v192, v[146:147], v[148:149] offset1:1
	v_pk_mul_f32 v[148:149], v[174:175], s[24:25]
	v_mov_b32_e32 v155, v157
	v_pk_fma_f32 v[150:151], v[26:27], s[8:9], v[148:149] neg_lo:[1,0,0] neg_hi:[1,0,0]
	v_pk_fma_f32 v[146:147], v[26:27], s[8:9], v[148:149]
	v_pk_mul_f32 v[152:153], v[164:165], s[22:23]
	v_mov_b32_e32 v151, v147
	v_pk_add_f32 v[12:13], v[154:155], v[12:13]
	v_pk_add_f32 v[154:155], v[24:25], v[150:151]
	v_pk_fma_f32 v[156:157], v[102:103], s[12:13], v[152:153] neg_lo:[1,0,0] neg_hi:[1,0,0]
	v_pk_fma_f32 v[150:151], v[102:103], s[12:13], v[152:153]
	v_mov_b32_e32 v163, v161
	v_mov_b32_e32 v157, v151
	v_pk_add_f32 v[160:161], v[156:157], v[154:155]
	v_pk_mul_f32 v[156:157], v[158:159], s[26:27]
	v_pk_add_f32 v[14:15], v[162:163], v[14:15]
	v_pk_fma_f32 v[162:163], v[112:113], s[14:15], v[156:157] neg_lo:[1,0,0] neg_hi:[1,0,0]
	v_pk_fma_f32 v[154:155], v[112:113], s[14:15], v[156:157]
	s_mov_b32 s50, s28
	v_mov_b32_e32 v163, v155
	s_mov_b32 s51, s16
	v_pk_add_f32 v[12:13], v[166:167], v[12:13]
	v_pk_add_f32 v[166:167], v[162:163], v[160:161]
	s_mov_b32 s17, s28
	v_pk_mul_f32 v[162:163], v[142:143], s[50:51]
	s_mov_b32 s48, s38
	v_pk_fma_f32 v[168:169], v[120:121], s[16:17], v[162:163] neg_lo:[1,0,0] neg_hi:[1,0,0]
	v_pk_fma_f32 v[160:161], v[120:121], s[16:17], v[162:163]
	s_mov_b32 s49, s18
	v_mov_b32_e32 v169, v161
	v_pk_add_f32 v[170:171], v[168:169], v[166:167]
	s_mov_b32 s19, s38
	v_pk_mul_f32 v[168:169], v[140:141], s[48:49]
	s_mov_b32 s43, s34
	v_pk_fma_f32 v[172:173], v[126:127], s[18:19], v[168:169] neg_lo:[1,0,0] neg_hi:[1,0,0]
	v_pk_fma_f32 v[166:167], v[126:127], s[18:19], v[168:169]
	s_mov_b32 s35, s42
	v_mov_b32_e32 v173, v167
	v_pk_add_f32 v[176:177], v[172:173], v[170:171]
	v_pk_mul_f32 v[172:173], v[144:145], s[42:43]
	v_pk_mul_f32 v[182:183], v[164:165], s[26:27]
	v_pk_fma_f32 v[178:179], v[134:135], s[34:35], v[172:173] neg_lo:[1,0,0] neg_hi:[1,0,0]
	v_pk_fma_f32 v[170:171], v[134:135], s[34:35], v[172:173]
	v_pk_fma_f32 v[186:187], v[102:103], s[14:15], v[182:183] neg_lo:[1,0,0] neg_hi:[1,0,0]
	v_mov_b32_e32 v179, v171
	v_pk_add_f32 v[194:195], v[178:179], v[176:177]
	v_pk_mul_f32 v[178:179], v[174:175], s[38:39]
	s_mov_b32 s52, s22
	v_pk_fma_f32 v[180:181], v[26:27], s[20:21], v[178:179] neg_lo:[1,0,0] neg_hi:[1,0,0]
	v_pk_fma_f32 v[176:177], v[26:27], s[20:21], v[178:179]
	s_mov_b32 s53, s36
	v_mov_b32_e32 v181, v177
	v_pk_add_f32 v[184:185], v[24:25], v[180:181]
	v_pk_fma_f32 v[180:181], v[102:103], s[14:15], v[182:183]
	s_mov_b32 s37, s22
	v_mov_b32_e32 v187, v181
	v_pk_add_f32 v[188:189], v[186:187], v[184:185]
	v_pk_mul_f32 v[186:187], v[158:159], s[52:53]
	v_pk_mul_f32 v[198:199], v[142:143], s[42:43]
	v_pk_fma_f32 v[196:197], v[112:113], s[36:37], v[186:187] neg_lo:[1,0,0] neg_hi:[1,0,0]
	v_pk_fma_f32 v[184:185], v[112:113], s[36:37], v[186:187]
	v_pk_fma_f32 v[200:201], v[120:121], s[34:35], v[198:199] neg_lo:[1,0,0] neg_hi:[1,0,0]
	v_mov_b32_e32 v197, v185
	v_pk_add_f32 v[196:197], v[196:197], v[188:189]
	v_pk_fma_f32 v[188:189], v[120:121], s[34:35], v[198:199]
	v_pk_mul_f32 v[210:211], v[164:165], s[50:51]
	v_mov_b32_e32 v201, v189
	v_pk_add_f32 v[196:197], v[200:201], v[196:197]
	v_pk_mul_f32 v[200:201], v[140:141], s[24:25]
	v_pk_fma_f32 v[212:213], v[102:103], s[16:17], v[210:211] neg_lo:[1,0,0] neg_hi:[1,0,0]
	v_pk_fma_f32 v[202:203], v[126:127], s[8:9], v[200:201] neg_lo:[1,0,0] neg_hi:[1,0,0]
	v_pk_fma_f32 v[204:205], v[126:127], s[8:9], v[200:201]
	v_pk_fma_f32 v[214:215], v[102:103], s[16:17], v[210:211]
	v_mov_b32_e32 v203, v205
	v_pk_add_f32 v[196:197], v[202:203], v[196:197]
	v_pk_mul_f32 v[202:203], v[144:145], s[28:29]
	v_mov_b32_e32 v213, v215
	v_pk_fma_f32 v[206:207], v[134:135], s[30:31], v[202:203] neg_lo:[1,0,0] neg_hi:[1,0,0]
	v_pk_fma_f32 v[208:209], v[134:135], s[30:31], v[202:203]
	s_mov_b32 s41, s26
	v_mov_b32_e32 v207, v209
	v_pk_add_f32 v[196:197], v[206:207], v[196:197]
	ds_write2_b64 v192, v[194:195], v[196:197] offset0:2 offset1:3
	v_pk_mul_f32 v[194:195], v[174:175], s[22:23]
	s_mov_b32 s50, s24
	v_pk_fma_f32 v[196:197], v[26:27], s[12:13], v[194:195] neg_lo:[1,0,0] neg_hi:[1,0,0]
	v_pk_fma_f32 v[206:207], v[26:27], s[12:13], v[194:195]
	s_mov_b32 s51, s44
	v_mov_b32_e32 v197, v207
	v_pk_add_f32 v[196:197], v[24:25], v[196:197]
	s_mov_b32 s45, s24
	v_pk_add_f32 v[196:197], v[212:213], v[196:197]
	v_pk_mul_f32 v[212:213], v[158:159], s[42:43]
	v_pk_mul_f32 v[236:237], v[164:165], s[48:49]
	v_pk_fma_f32 v[216:217], v[112:113], s[34:35], v[212:213] neg_lo:[1,0,0] neg_hi:[1,0,0]
	v_pk_fma_f32 v[218:219], v[112:113], s[34:35], v[212:213]
	v_pk_fma_f32 v[238:239], v[102:103], s[18:19], v[236:237] neg_lo:[1,0,0] neg_hi:[1,0,0]
	v_mov_b32_e32 v217, v219
	v_pk_add_f32 v[196:197], v[216:217], v[196:197]
	v_pk_mul_f32 v[216:217], v[142:143], s[38:39]
	s_mov_b32 s38, s26
	v_pk_fma_f32 v[220:221], v[120:121], s[20:21], v[216:217] neg_lo:[1,0,0] neg_hi:[1,0,0]
	v_pk_fma_f32 v[222:223], v[120:121], s[20:21], v[216:217]
	s_mov_b32 s39, s40
	v_mov_b32_e32 v221, v223
	v_pk_add_f32 v[196:197], v[220:221], v[196:197]
	v_pk_mul_f32 v[220:221], v[140:141], s[38:39]
	v_pk_fma_f32 v[240:241], v[102:103], s[18:19], v[236:237]
	v_pk_fma_f32 v[224:225], v[126:127], s[40:41], v[220:221] neg_lo:[1,0,0] neg_hi:[1,0,0]
	v_pk_fma_f32 v[226:227], v[126:127], s[40:41], v[220:221]
	v_mov_b32_e32 v239, v241
	v_mov_b32_e32 v225, v227
	v_pk_add_f32 v[196:197], v[224:225], v[196:197]
	v_pk_mul_f32 v[224:225], v[144:145], s[50:51]
	v_pk_mul_f32 v[164:165], v[164:165], s[42:43]
	v_pk_fma_f32 v[228:229], v[134:135], s[44:45], v[224:225] neg_lo:[1,0,0] neg_hi:[1,0,0]
	v_pk_fma_f32 v[230:231], v[134:135], s[44:45], v[224:225]
	v_pk_fma_f32 v[72:73], v[102:103], s[34:35], v[164:165]
	v_mov_b32_e32 v229, v231
	v_pk_add_f32 v[196:197], v[228:229], v[196:197]
	v_pk_mul_f32 v[228:229], v[174:175], s[28:29]
	v_pk_mul_f32 v[174:175], v[174:175], s[26:27]
	v_pk_fma_f32 v[232:233], v[26:27], s[30:31], v[228:229] neg_lo:[1,0,0] neg_hi:[1,0,0]
	v_pk_fma_f32 v[234:235], v[26:27], s[30:31], v[228:229]
	s_nop 0
	v_mov_b32_e32 v233, v235
	v_pk_add_f32 v[232:233], v[24:25], v[232:233]
	s_nop 0
	v_pk_add_f32 v[232:233], v[238:239], v[232:233]
	v_pk_mul_f32 v[238:239], v[158:159], s[24:25]
	v_pk_mul_f32 v[158:159], v[158:159], s[28:29]
	v_pk_fma_f32 v[242:243], v[112:113], s[8:9], v[238:239] neg_lo:[1,0,0] neg_hi:[1,0,0]
	v_pk_fma_f32 v[244:245], v[112:113], s[8:9], v[238:239]
	v_pk_fma_f32 v[74:75], v[112:113], s[30:31], v[158:159]
	v_mov_b32_e32 v243, v245
	v_pk_add_f32 v[232:233], v[242:243], v[232:233]
	v_pk_mul_f32 v[242:243], v[142:143], s[38:39]
	v_pk_mul_f32 v[142:143], v[142:143], s[50:51]
	v_pk_fma_f32 v[246:247], v[120:121], s[40:41], v[242:243] neg_lo:[1,0,0] neg_hi:[1,0,0]
	v_pk_fma_f32 v[248:249], v[120:121], s[40:41], v[242:243]
	v_pk_fma_f32 v[76:77], v[120:121], s[44:45], v[142:143]
	v_mov_b32_e32 v247, v249
	;; [unrolled: 7-line block ×4, first 2 shown]
	v_pk_add_f32 v[232:233], v[254:255], v[232:233]
	ds_write2_b64 v192, v[196:197], v[232:233] offset0:4 offset1:5
	v_pk_fma_f32 v[196:197], v[26:27], s[14:15], v[174:175] neg_lo:[1,0,0] neg_hi:[1,0,0]
	v_pk_fma_f32 v[232:233], v[26:27], s[14:15], v[174:175]
	v_pk_fma_f32 v[254:255], v[102:103], s[34:35], v[164:165] neg_lo:[1,0,0] neg_hi:[1,0,0]
	v_mov_b32_e32 v197, v233
	v_pk_add_f32 v[196:197], v[24:25], v[196:197]
	v_mov_b32_e32 v255, v73
	v_pk_add_f32 v[196:197], v[254:255], v[196:197]
	v_pk_fma_f32 v[254:255], v[112:113], s[30:31], v[158:159] neg_lo:[1,0,0] neg_hi:[1,0,0]
	v_pk_fma_f32 v[174:175], v[26:27], s[14:15], v[174:175] neg_lo:[0,0,1] neg_hi:[0,0,1]
	v_mov_b32_e32 v255, v75
	v_mov_b32_e32 v233, v175
	v_pk_fma_f32 v[164:165], v[102:103], s[34:35], v[164:165] neg_lo:[0,0,1] neg_hi:[0,0,1]
	v_pk_add_f32 v[196:197], v[254:255], v[196:197]
	v_pk_fma_f32 v[254:255], v[120:121], s[44:45], v[142:143] neg_lo:[1,0,0] neg_hi:[1,0,0]
	v_mov_b32_e32 v73, v165
	v_pk_add_f32 v[164:165], v[24:25], v[232:233]
	v_pk_fma_f32 v[158:159], v[112:113], s[30:31], v[158:159] neg_lo:[0,0,1] neg_hi:[0,0,1]
	v_mov_b32_e32 v255, v77
	v_pk_add_f32 v[72:73], v[72:73], v[164:165]
	v_mov_b32_e32 v75, v159
	v_pk_add_f32 v[196:197], v[254:255], v[196:197]
	v_pk_fma_f32 v[254:255], v[126:127], s[12:13], v[140:141] neg_lo:[1,0,0] neg_hi:[1,0,0]
	v_pk_add_f32 v[72:73], v[74:75], v[72:73]
	v_pk_fma_f32 v[74:75], v[120:121], s[44:45], v[142:143] neg_lo:[0,0,1] neg_hi:[0,0,1]
	v_mov_b32_e32 v255, v79
	v_mov_b32_e32 v77, v75
	v_pk_fma_f32 v[74:75], v[126:127], s[12:13], v[140:141] neg_lo:[0,0,1] neg_hi:[0,0,1]
	v_pk_add_f32 v[196:197], v[254:255], v[196:197]
	v_pk_fma_f32 v[254:255], v[134:135], s[18:19], v[144:145] neg_lo:[1,0,0] neg_hi:[1,0,0]
	v_mov_b32_e32 v79, v75
	v_pk_fma_f32 v[74:75], v[134:135], s[18:19], v[144:145] neg_lo:[0,0,1] neg_hi:[0,0,1]
	v_mov_b32_e32 v255, v81
	v_mov_b32_e32 v81, v75
	v_pk_fma_f32 v[74:75], v[112:113], s[8:9], v[238:239] neg_lo:[0,0,1] neg_hi:[0,0,1]
	v_pk_add_f32 v[72:73], v[76:77], v[72:73]
	v_mov_b32_e32 v245, v75
	v_pk_fma_f32 v[74:75], v[120:121], s[40:41], v[242:243] neg_lo:[0,0,1] neg_hi:[0,0,1]
	v_pk_add_f32 v[72:73], v[78:79], v[72:73]
	;; [unrolled: 3-line block ×3, first 2 shown]
	v_pk_add_f32 v[72:73], v[80:81], v[72:73]
	v_mov_b32_e32 v253, v75
	v_pk_fma_f32 v[74:75], v[134:135], s[12:13], v[250:251] neg_lo:[0,0,1] neg_hi:[0,0,1]
	ds_write2_b64 v192, v[196:197], v[72:73] offset0:6 offset1:7
	v_pk_fma_f32 v[72:73], v[26:27], s[30:31], v[228:229] neg_lo:[0,0,1] neg_hi:[0,0,1]
	v_mov_b32_e32 v87, v75
	v_pk_fma_f32 v[74:75], v[26:27], s[12:13], v[194:195] neg_lo:[0,0,1] neg_hi:[0,0,1]
	v_mov_b32_e32 v235, v73
	;; [unrolled: 2-line block ×4, first 2 shown]
	v_pk_add_f32 v[72:73], v[24:25], v[234:235]
	v_mov_b32_e32 v215, v75
	v_pk_add_f32 v[74:75], v[24:25], v[206:207]
	v_pk_fma_f32 v[76:77], v[112:113], s[34:35], v[212:213] neg_lo:[0,0,1] neg_hi:[0,0,1]
	v_pk_add_f32 v[72:73], v[240:241], v[72:73]
	v_pk_add_f32 v[74:75], v[214:215], v[74:75]
	v_mov_b32_e32 v219, v77
	v_pk_fma_f32 v[76:77], v[120:121], s[20:21], v[216:217] neg_lo:[0,0,1] neg_hi:[0,0,1]
	v_pk_add_f32 v[72:73], v[244:245], v[72:73]
	v_pk_add_f32 v[74:75], v[218:219], v[74:75]
	v_mov_b32_e32 v223, v77
	;; [unrolled: 4-line block ×4, first 2 shown]
	v_pk_add_f32 v[72:73], v[86:87], v[72:73]
	v_pk_add_f32 v[74:75], v[230:231], v[74:75]
	ds_write2_b64 v192, v[72:73], v[74:75] offset0:8 offset1:9
	v_pk_fma_f32 v[74:75], v[112:113], s[36:37], v[186:187] neg_lo:[0,0,1] neg_hi:[0,0,1]
	v_pk_fma_f32 v[72:73], v[26:27], s[20:21], v[178:179] neg_lo:[0,0,1] neg_hi:[0,0,1]
	v_mov_b32_e32 v185, v75
	v_pk_fma_f32 v[74:75], v[120:121], s[34:35], v[198:199] neg_lo:[0,0,1] neg_hi:[0,0,1]
	v_mov_b32_e32 v177, v73
	v_mov_b32_e32 v189, v75
	v_pk_fma_f32 v[74:75], v[126:127], s[8:9], v[200:201] neg_lo:[0,0,1] neg_hi:[0,0,1]
	v_pk_fma_f32 v[72:73], v[102:103], s[14:15], v[182:183] neg_lo:[0,0,1] neg_hi:[0,0,1]
	v_mov_b32_e32 v205, v75
	v_pk_fma_f32 v[74:75], v[134:135], s[30:31], v[202:203] neg_lo:[0,0,1] neg_hi:[0,0,1]
	v_mov_b32_e32 v181, v73
	v_mov_b32_e32 v209, v75
	v_pk_fma_f32 v[74:75], v[26:27], s[8:9], v[148:149] neg_lo:[0,0,1] neg_hi:[0,0,1]
	v_pk_add_f32 v[72:73], v[24:25], v[176:177]
	v_mov_b32_e32 v147, v75
	v_pk_fma_f32 v[74:75], v[102:103], s[12:13], v[152:153] neg_lo:[0,0,1] neg_hi:[0,0,1]
	v_pk_fma_f32 v[76:77], v[112:113], s[14:15], v[156:157] neg_lo:[0,0,1] neg_hi:[0,0,1]
	v_mov_b32_e32 v151, v75
	v_pk_add_f32 v[74:75], v[24:25], v[146:147]
	v_pk_add_f32 v[72:73], v[180:181], v[72:73]
	;; [unrolled: 1-line block ×3, first 2 shown]
	v_mov_b32_e32 v155, v77
	v_pk_fma_f32 v[76:77], v[120:121], s[16:17], v[162:163] neg_lo:[0,0,1] neg_hi:[0,0,1]
	v_pk_add_f32 v[72:73], v[184:185], v[72:73]
	v_pk_add_f32 v[74:75], v[154:155], v[74:75]
	v_mov_b32_e32 v161, v77
	v_pk_fma_f32 v[76:77], v[126:127], s[18:19], v[168:169] neg_lo:[0,0,1] neg_hi:[0,0,1]
	v_pk_add_f32 v[72:73], v[188:189], v[72:73]
	v_pk_add_f32 v[74:75], v[160:161], v[74:75]
	;; [unrolled: 4-line block ×4, first 2 shown]
	v_mov_b32_e32 v115, v27
	v_mov_b32_e32 v26, v50
	;; [unrolled: 1-line block ×4, first 2 shown]
	ds_write2_b64 v192, v[72:73], v[74:75] offset0:10 offset1:11
	v_pk_add_f32 v[26:27], v[26:27], v[20:21]
	v_mov_b32_e32 v72, v62
	v_mov_b32_e32 v73, v61
	v_mov_b32_e32 v61, v63
	v_pk_add_f32 v[48:49], v[48:49], v[20:21]
	v_pk_add_f32 v[26:27], v[72:73], v[26:27]
	v_mov_b32_e32 v72, v64
	v_mov_b32_e32 v73, v67
	v_pk_add_f32 v[48:49], v[60:61], v[48:49]
	v_mov_b32_e32 v67, v65
	v_pk_add_f32 v[26:27], v[72:73], v[26:27]
	v_mov_b32_e32 v72, v106
	v_mov_b32_e32 v73, v105
	v_pk_add_f32 v[48:49], v[66:67], v[48:49]
	v_mov_b32_e32 v105, v107
	v_pk_add_f32 v[26:27], v[72:73], v[26:27]
	v_pk_add_f32 v[48:49], v[104:105], v[48:49]
	v_mov_b32_e32 v50, v56
	v_mov_b32_e32 v51, v59
	;; [unrolled: 1-line block ×3, first 2 shown]
	v_pk_add_f32 v[48:49], v[50:51], v[48:49]
	v_pk_add_f32 v[26:27], v[58:59], v[26:27]
	v_mov_b32_e32 v50, v52
	v_mov_b32_e32 v51, v55
	;; [unrolled: 1-line block ×3, first 2 shown]
	v_pk_add_f32 v[24:25], v[24:25], v[114:115]
	v_pk_add_f32 v[114:115], v[54:55], v[26:27]
	;; [unrolled: 1-line block ×3, first 2 shown]
	v_pk_fma_f32 v[48:49], v[102:103], s[8:9], v[110:111] neg_lo:[0,0,1] neg_hi:[0,0,1]
	v_lshl_add_u64 v[56:57], s[2:3], 0, v[68:69]
	v_mov_b32_e32 v109, v49
	v_pk_fma_f32 v[48:49], v[112:113], s[20:21], v[118:119] neg_lo:[0,0,1] neg_hi:[0,0,1]
	v_pk_add_f32 v[24:25], v[108:109], v[24:25]
	v_mov_b32_e32 v117, v49
	v_pk_fma_f32 v[48:49], v[120:121], s[12:13], v[124:125] neg_lo:[0,0,1] neg_hi:[0,0,1]
	v_pk_add_f32 v[24:25], v[116:117], v[24:25]
	;; [unrolled: 3-line block ×4, first 2 shown]
	v_mov_b32_e32 v137, v49
	v_pk_add_f32 v[24:25], v[136:137], v[24:25]
	ds_write_b64 v192, v[24:25] offset:96
	s_and_saveexec_b64 s[8:9], vcc
	s_cbranch_execz .LBB0_7
; %bb.6:
	v_pk_add_f32 v[20:21], v[22:23], v[20:21]
	s_nop 0
	v_pk_add_f32 v[20:21], v[40:41], v[20:21]
	s_nop 0
	;; [unrolled: 2-line block ×11, first 2 shown]
	v_pk_add_f32 v[20:21], v[70:71], v[20:21]
	ds_write2_b64 v85, v[20:21], v[26:27] offset0:169 offset1:170
	ds_write2_b64 v85, v[0:1], v[2:3] offset0:171 offset1:172
	;; [unrolled: 1-line block ×6, first 2 shown]
	ds_write_b64 v85, v[114:115] offset:1448
.LBB0_7:
	s_or_b64 exec, exec, s[8:9]
	v_accvgpr_read_b32 v254, a10
	v_add_u16_e32 v20, 26, v254
	s_movk_i32 s8, 0x4f
	v_add_u16_e32 v22, 39, v254
	v_mul_lo_u16_sdwa v21, v20, s8 dst_sel:DWORD dst_unused:UNUSED_PAD src0_sel:BYTE_0 src1_sel:DWORD
	v_mul_lo_u16_sdwa v23, v22, s8 dst_sel:DWORD dst_unused:UNUSED_PAD src0_sel:BYTE_0 src1_sel:DWORD
	v_lshrrev_b16_e32 v21, 10, v21
	v_lshrrev_b16_e32 v23, 10, v23
	v_mul_lo_u16_e32 v21, 13, v21
	v_mul_lo_u16_e32 v23, 13, v23
	v_sub_u16_e32 v20, v20, v21
	v_mov_b32_e32 v21, 3
	v_sub_u16_e32 v22, v22, v23
	v_lshlrev_b32_sdwa v24, v21, v22 dst_sel:DWORD dst_unused:UNUSED_PAD src0_sel:DWORD src1_sel:BYTE_0
	v_add_u16_e32 v22, 52, v254
	v_mul_lo_u16_sdwa v23, v22, s8 dst_sel:DWORD dst_unused:UNUSED_PAD src0_sel:BYTE_0 src1_sel:DWORD
	v_lshrrev_b16_e32 v23, 10, v23
	v_mul_lo_u16_e32 v23, 13, v23
	v_sub_u16_e32 v22, v22, v23
	v_lshlrev_b32_sdwa v25, v21, v22 dst_sel:DWORD dst_unused:UNUSED_PAD src0_sel:DWORD src1_sel:BYTE_0
	v_add_u16_e32 v22, 0x41, v254
	v_mul_lo_u16_sdwa v23, v22, s8 dst_sel:DWORD dst_unused:UNUSED_PAD src0_sel:BYTE_0 src1_sel:DWORD
	v_lshrrev_b16_e32 v23, 10, v23
	v_mul_lo_u16_e32 v23, 13, v23
	v_sub_u16_e32 v22, v22, v23
	v_lshlrev_b32_sdwa v52, v21, v22 dst_sel:DWORD dst_unused:UNUSED_PAD src0_sel:DWORD src1_sel:BYTE_0
	v_add_u16_e32 v22, 0x4e, v254
	v_lshlrev_b32_e32 v58, 3, v254
	v_mul_lo_u16_sdwa v23, v22, s8 dst_sel:DWORD dst_unused:UNUSED_PAD src0_sel:BYTE_0 src1_sel:DWORD
	s_waitcnt lgkmcnt(0)
	; wave barrier
	s_waitcnt lgkmcnt(0)
	global_load_dwordx2 v[102:103], v58, s[0:1]
	v_lshrrev_b16_e32 v23, 10, v23
	v_mul_lo_u16_e32 v23, 13, v23
	v_sub_u16_e32 v22, v22, v23
	v_lshlrev_b32_sdwa v54, v21, v20 dst_sel:DWORD dst_unused:UNUSED_PAD src0_sel:DWORD src1_sel:BYTE_0
	v_lshlrev_b32_sdwa v53, v21, v22 dst_sel:DWORD dst_unused:UNUSED_PAD src0_sel:DWORD src1_sel:BYTE_0
	global_load_dwordx2 v[110:111], v52, s[0:1]
	global_load_dwordx2 v[112:113], v53, s[0:1]
	;; [unrolled: 1-line block ×5, first 2 shown]
	ds_read2_b64 v[20:23], v190 offset1:13
	ds_read2_b64 v[28:31], v190 offset0:78 offset1:91
	ds_read2_b64 v[32:35], v190 offset0:156 offset1:169
	;; [unrolled: 1-line block ×6, first 2 shown]
	v_add_u32_e32 v157, v85, v24
	v_add_u32_e32 v156, v85, v25
	;; [unrolled: 1-line block ×5, first 2 shown]
	s_waitcnt lgkmcnt(0)
	; wave barrier
	s_waitcnt lgkmcnt(0)
	s_mov_b32 s20, 0x3eae86e6
	s_mov_b32 s16, 0x3d64c772
	s_mov_b32 s21, 0xbf08b237
	s_mov_b32 s17, 0x3f4a47b2
	s_mov_b32 s22, s21
	s_mov_b32 s23, s20
	s_mov_b32 s14, 0x3f955555
	s_mov_b32 s18, s17
	s_mov_b32 s19, s16
	s_mov_b32 s12, 0x3f3bfb3b
	s_mov_b32 s8, 0x3f5ff5aa
	s_waitcnt vmcnt(5)
	v_pk_mul_f32 v[24:25], v[30:31], v[102:103] op_sel:[0,1]
	v_pk_mul_f32 v[52:53], v[48:49], v[102:103] op_sel:[0,1]
	v_pk_fma_f32 v[54:55], v[30:31], v[102:103], v[24:25] op_sel:[0,0,1] op_sel_hi:[1,1,0] neg_lo:[0,0,1] neg_hi:[0,0,1]
	v_pk_fma_f32 v[24:25], v[30:31], v[102:103], v[24:25] op_sel:[0,0,1] op_sel_hi:[1,0,0]
	v_pk_fma_f32 v[30:31], v[48:49], v[102:103], v[52:53] op_sel:[0,0,1] op_sel_hi:[1,1,0] neg_lo:[0,0,1] neg_hi:[0,0,1]
	v_pk_fma_f32 v[48:49], v[48:49], v[102:103], v[52:53] op_sel:[0,0,1] op_sel_hi:[1,0,0]
	v_mov_b32_e32 v55, v25
	v_mov_b32_e32 v31, v49
	v_pk_add_f32 v[24:25], v[20:21], v[54:55] neg_lo:[0,1] neg_hi:[0,1]
	s_waitcnt vmcnt(3)
	v_pk_mul_f32 v[48:49], v[34:35], v[112:113] op_sel:[0,1]
	v_pk_mul_f32 v[52:53], v[32:33], v[110:111] op_sel:[0,1]
	s_waitcnt vmcnt(1)
	v_pk_mul_f32 v[54:55], v[42:43], v[108:109] op_sel:[0,1]
	v_pk_mul_f32 v[60:61], v[40:41], v[106:107] op_sel:[0,1]
	s_waitcnt vmcnt(0)
	v_pk_mul_f32 v[62:63], v[50:51], v[104:105] op_sel:[0,1]
	v_pk_fma_f32 v[64:65], v[34:35], v[112:113], v[48:49] op_sel:[0,0,1] op_sel_hi:[1,1,0] neg_lo:[0,0,1] neg_hi:[0,0,1]
	v_pk_fma_f32 v[34:35], v[34:35], v[112:113], v[48:49] op_sel:[0,0,1] op_sel_hi:[1,0,0]
	v_pk_fma_f32 v[48:49], v[32:33], v[110:111], v[52:53] op_sel:[0,0,1] op_sel_hi:[1,1,0] neg_lo:[0,0,1] neg_hi:[0,0,1]
	v_pk_fma_f32 v[32:33], v[32:33], v[110:111], v[52:53] op_sel:[0,0,1] op_sel_hi:[1,0,0]
	;; [unrolled: 2-line block ×5, first 2 shown]
	v_pk_add_f32 v[30:31], v[22:23], v[30:31] neg_lo:[0,1] neg_hi:[0,1]
	v_pk_fma_f32 v[20:21], v[20:21], 2.0, v[24:25] op_sel_hi:[1,0,1] neg_lo:[0,0,1] neg_hi:[0,0,1]
	v_mov_b32_e32 v49, v33
	v_mov_b32_e32 v61, v51
	;; [unrolled: 1-line block ×4, first 2 shown]
	v_pk_add_f32 v[34:35], v[38:39], v[48:49] neg_lo:[0,1] neg_hi:[0,1]
	v_pk_add_f32 v[48:49], v[44:45], v[60:61] neg_lo:[0,1] neg_hi:[0,1]
	ds_write2_b64 v190, v[20:21], v[24:25] offset1:13
	v_pk_fma_f32 v[20:21], v[22:23], 2.0, v[30:31] op_sel_hi:[1,0,1] neg_lo:[0,0,1] neg_hi:[0,0,1]
	v_mov_b32_e32 v53, v43
	v_pk_add_f32 v[42:43], v[46:47], v[54:55] neg_lo:[0,1] neg_hi:[0,1]
	ds_write2_b64 v190, v[20:21], v[30:31] offset0:26 offset1:39
	v_pk_fma_f32 v[20:21], v[44:45], 2.0, v[48:49] op_sel_hi:[1,0,1] neg_lo:[0,0,1] neg_hi:[0,0,1]
	v_pk_add_f32 v[40:41], v[36:37], v[52:53] neg_lo:[0,1] neg_hi:[0,1]
	ds_write2_b64 v158, v[20:21], v[48:49] offset0:52 offset1:65
	v_pk_fma_f32 v[20:21], v[46:47], 2.0, v[42:43] op_sel_hi:[1,0,1] neg_lo:[0,0,1] neg_hi:[0,0,1]
	ds_write2_b64 v157, v[20:21], v[42:43] offset0:78 offset1:91
	v_pk_fma_f32 v[20:21], v[36:37], 2.0, v[40:41] op_sel_hi:[1,0,1] neg_lo:[0,0,1] neg_hi:[0,0,1]
	v_pk_add_f32 v[32:33], v[28:29], v[64:65] neg_lo:[0,1] neg_hi:[0,1]
	ds_write2_b64 v156, v[20:21], v[40:41] offset0:104 offset1:117
	v_pk_fma_f32 v[20:21], v[38:39], 2.0, v[34:35] op_sel_hi:[1,0,1] neg_lo:[0,0,1] neg_hi:[0,0,1]
	ds_write2_b64 v155, v[20:21], v[34:35] offset0:130 offset1:143
	v_pk_fma_f32 v[20:21], v[28:29], 2.0, v[32:33] op_sel_hi:[1,0,1] neg_lo:[0,0,1] neg_hi:[0,0,1]
	v_mad_u64_u32 v[24:25], s[0:1], v254, 48, s[0:1]
	ds_write2_b64 v154, v[20:21], v[32:33] offset0:156 offset1:169
	s_waitcnt lgkmcnt(0)
	; wave barrier
	s_waitcnt lgkmcnt(0)
	global_load_dwordx4 v[36:39], v[24:25], off offset:104
	global_load_dwordx4 v[32:35], v[24:25], off offset:136
	global_load_dwordx4 v[40:43], v[24:25], off offset:120
	ds_read2_b64 v[60:63], v190 offset0:26 offset1:39
	ds_read2_b64 v[64:67], v190 offset0:52 offset1:65
	;; [unrolled: 1-line block ×6, first 2 shown]
	ds_read2_b64 v[48:51], v190 offset1:13
	global_load_dwordx4 v[20:23], v[24:25], off offset:760
	global_load_dwordx4 v[44:47], v[24:25], off offset:744
	;; [unrolled: 1-line block ×3, first 2 shown]
	s_waitcnt lgkmcnt(6)
	v_mov_b32_e32 v70, v61
	s_waitcnt lgkmcnt(4)
	v_mov_b32_e32 v71, v116
	v_mov_b32_e32 v74, v117
	;; [unrolled: 1-line block ×3, first 2 shown]
	s_waitcnt lgkmcnt(3)
	v_mov_b32_e32 v78, v53
	s_waitcnt lgkmcnt(2)
	v_mov_b32_e32 v79, v120
	v_mov_b32_e32 v24, v60
	v_mov_b32_e32 v25, v117
	v_mov_b32_e32 v72, v116
	v_mov_b32_e32 v73, v65
	v_mov_b32_e32 v76, v52
	v_mov_b32_e32 v77, v121
	s_waitcnt lgkmcnt(1)
	v_mov_b32_e32 v86, v125
	v_mov_b32_e32 v87, v52
	;; [unrolled: 1-line block ×4, first 2 shown]
	s_mov_b32 s0, 0x3ee1c552
	s_waitcnt vmcnt(5)
	v_mov_b32_e32 v130, v37
	v_mov_b32_e32 v135, v39
	s_waitcnt vmcnt(3)
	v_mov_b32_e32 v131, v41
	v_mov_b32_e32 v134, v41
	;; [unrolled: 1-line block ×12, first 2 shown]
	v_pk_mul_f32 v[70:71], v[70:71], v[130:131]
	v_pk_mul_f32 v[74:75], v[74:75], v[134:135]
	;; [unrolled: 1-line block ×3, first 2 shown]
	v_mov_b32_e32 v140, v34
	v_mov_b32_e32 v141, v42
	v_pk_fma_f32 v[138:139], v[24:25], v[128:129], v[70:71] neg_lo:[0,0,1] neg_hi:[0,0,1]
	v_pk_fma_f32 v[24:25], v[24:25], v[128:129], v[70:71]
	v_pk_fma_f32 v[70:71], v[116:117], v[40:41], v[74:75] neg_lo:[0,0,1] neg_hi:[0,0,1]
	v_pk_fma_f32 v[72:73], v[72:73], v[132:133], v[74:75]
	v_pk_fma_f32 v[74:75], v[76:77], v[136:137], v[78:79]
	v_pk_mul_f32 v[76:77], v[86:87], v[142:143]
	v_mul_f32_e32 v60, v60, v37
	v_mul_f32_e32 v59, v65, v39
	v_mul_f32_e32 v69, v121, v33
	v_mul_f32_e32 v124, v124, v35
	v_pk_fma_f32 v[52:53], v[52:53], v[42:43], v[78:79] neg_lo:[0,0,1] neg_hi:[0,0,1]
	v_pk_fma_f32 v[78:79], v[80:81], v[140:141], v[76:77] neg_lo:[0,0,1] neg_hi:[0,0,1]
	v_pk_fma_f32 v[76:77], v[80:81], v[140:141], v[76:77]
	v_fmac_f32_e32 v60, v61, v36
	v_fma_f32 v65, v64, v38, -v59
	v_fma_f32 v121, v120, v32, -v69
	v_fmac_f32_e32 v124, v125, v34
	v_mov_b32_e32 v139, v25
	v_mov_b32_e32 v71, v73
	;; [unrolled: 1-line block ×12, first 2 shown]
	v_add_f32_e32 v131, v60, v124
	v_add_f32_e32 v134, v65, v121
	v_pk_add_f32 v[60:61], v[60:61], v[124:125] neg_lo:[0,1] neg_hi:[0,1]
	v_pk_add_f32 v[64:65], v[64:65], v[120:121] neg_lo:[0,1] neg_hi:[0,1]
	v_pk_add_f32 v[72:73], v[70:71], v[52:53]
	v_pk_add_f32 v[74:75], v[138:139], v[78:79]
	v_pk_add_f32 v[24:25], v[76:77], v[24:25] neg_lo:[0,1] neg_hi:[0,1]
	v_add_f32_e32 v52, v134, v74
	v_add_f32_e32 v71, v73, v131
	v_mov_b32_e32 v130, v72
	v_mov_b32_e32 v135, v75
	;; [unrolled: 1-line block ×8, first 2 shown]
	v_pk_add_f32 v[76:77], v[130:131], v[134:135] neg_lo:[0,1] neg_hi:[0,1]
	v_pk_add_f32 v[80:81], v[24:25], v[64:65]
	v_pk_add_f32 v[86:87], v[86:87], v[116:117] neg_lo:[0,1] neg_hi:[0,1]
	v_mov_b32_e32 v116, v60
	v_mov_b32_e32 v25, v65
	v_pk_add_f32 v[52:53], v[52:53], v[70:71]
	v_pk_add_f32 v[78:79], v[74:75], v[72:73] neg_lo:[0,1] neg_hi:[0,1]
	v_pk_add_f32 v[24:25], v[116:117], v[24:25] neg_lo:[0,1] neg_hi:[0,1]
	s_waitcnt lgkmcnt(0)
	v_pk_add_f32 v[48:49], v[48:49], v[52:53]
	v_pk_mul_f32 v[76:77], v[76:77], s[16:17]
	v_pk_mul_f32 v[86:87], v[86:87], s[22:23]
	v_pk_add_f32 v[70:71], v[80:81], v[60:61]
	v_pk_mul_f32 v[80:81], v[78:79], s[18:19]
	v_pk_mul_f32 v[116:117], v[24:25], s[20:21]
	v_pk_fma_f32 v[52:53], v[52:53], s[14:15], v[48:49] op_sel_hi:[1,0,1] neg_lo:[1,0,0] neg_hi:[1,0,0]
	v_pk_fma_f32 v[78:79], v[78:79], s[18:19], v[76:77]
	v_pk_fma_f32 v[24:25], v[24:25], s[20:21], v[86:87]
	v_pk_add_f32 v[78:79], v[78:79], v[52:53]
	v_pk_fma_f32 v[24:25], v[70:71], s[0:1], v[24:25] op_sel_hi:[1,0,1]
	v_mov_b32_e32 v135, v73
	v_mov_b32_e32 v75, v131
	v_pk_add_f32 v[120:121], v[78:79], v[24:25]
	v_pk_add_f32 v[78:79], v[78:79], v[24:25] neg_lo:[0,1] neg_hi:[0,1]
	v_pk_add_f32 v[72:73], v[134:135], v[74:75] neg_lo:[0,1] neg_hi:[0,1]
	;; [unrolled: 1-line block ×3, first 2 shown]
	v_mov_b32_e32 v24, v80
	v_mov_b32_e32 v25, v77
	;; [unrolled: 1-line block ×4, first 2 shown]
	v_pk_fma_f32 v[24:25], v[72:73], s[12:13], v[24:25] op_sel_hi:[1,0,1] neg_lo:[1,0,1] neg_hi:[1,0,1]
	v_pk_fma_f32 v[64:65], v[60:61], s[8:9], v[64:65] op_sel_hi:[1,0,1] neg_lo:[1,0,1] neg_hi:[1,0,1]
	v_pk_add_f32 v[24:25], v[24:25], v[52:53]
	v_pk_fma_f32 v[64:65], v[70:71], s[0:1], v[64:65] op_sel_hi:[1,0,1]
	v_lshl_add_u32 v130, v191, 3, v68
	v_pk_add_f32 v[74:75], v[24:25], v[64:65]
	v_pk_add_f32 v[64:65], v[24:25], v[64:65] neg_lo:[0,1] neg_hi:[0,1]
	s_waitcnt vmcnt(0)
	v_pk_mul_f32 v[24:25], v[62:63], v[28:29] op_sel:[0,1]
	v_mov_b32_e32 v80, v47
	v_pk_fma_f32 v[68:69], v[62:63], v[28:29], v[24:25] op_sel:[0,0,1] op_sel_hi:[1,1,0] neg_lo:[0,0,1] neg_hi:[0,0,1]
	v_pk_fma_f32 v[24:25], v[62:63], v[28:29], v[24:25] op_sel:[0,0,1] op_sel_hi:[1,0,0]
	v_mov_b32_e32 v77, v81
	v_mov_b32_e32 v24, v31
	;; [unrolled: 1-line block ×3, first 2 shown]
	v_pk_mul_f32 v[24:25], v[66:67], v[24:25] op_sel_hi:[1,0]
	v_mov_b32_e32 v87, v117
	v_pk_fma_f32 v[62:63], v[66:67], v[30:31], v[24:25] op_sel:[0,0,1] op_sel_hi:[1,1,0] neg_lo:[0,0,1] neg_hi:[0,0,1]
	v_pk_fma_f32 v[24:25], v[66:67], v[30:31], v[24:25] op_sel:[0,0,1] op_sel_hi:[1,0,0]
	v_pk_fma_f32 v[72:73], v[72:73], s[12:13], v[76:77] op_sel_hi:[1,0,1] neg_lo:[0,0,1] neg_hi:[0,0,1]
	v_mov_b32_e32 v63, v25
	v_pk_mul_f32 v[24:25], v[122:123], v[20:21] op_sel:[0,1]
	v_pk_fma_f32 v[60:61], v[60:61], s[8:9], v[86:87] op_sel_hi:[1,0,1] neg_lo:[0,0,1] neg_hi:[0,0,1]
	v_pk_fma_f32 v[66:67], v[122:123], v[20:21], v[24:25] op_sel:[0,0,1] op_sel_hi:[1,1,0] neg_lo:[0,0,1] neg_hi:[0,0,1]
	v_pk_fma_f32 v[24:25], v[122:123], v[20:21], v[24:25] op_sel:[0,0,1] op_sel_hi:[1,0,0]
	v_pk_add_f32 v[52:53], v[72:73], v[52:53]
	v_mov_b32_e32 v24, v23
	v_mov_b32_e32 v67, v25
	v_pk_mul_f32 v[24:25], v[126:127], v[24:25] op_sel_hi:[1,0]
	v_pk_fma_f32 v[60:61], v[70:71], s[0:1], v[60:61] op_sel_hi:[1,0,1]
	v_pk_fma_f32 v[122:123], v[126:127], v[22:23], v[24:25] op_sel:[0,0,1] op_sel_hi:[1,1,0] neg_lo:[0,0,1] neg_hi:[0,0,1]
	v_pk_fma_f32 v[24:25], v[126:127], v[22:23], v[24:25] op_sel:[0,0,1] op_sel_hi:[1,0,0]
	v_pk_mul_f32 v[126:127], v[118:119], v[44:45] op_sel:[0,1]
	v_mov_b32_e32 v123, v25
	v_pk_fma_f32 v[128:129], v[118:119], v[44:45], v[126:127] op_sel:[0,0,1] op_sel_hi:[1,1,0] neg_lo:[0,0,1] neg_hi:[0,0,1]
	v_pk_fma_f32 v[118:119], v[118:119], v[44:45], v[126:127] op_sel:[0,0,1] op_sel_hi:[1,0,0]
	v_pk_add_f32 v[24:25], v[68:69], v[122:123]
	v_mov_b32_e32 v129, v119
	v_pk_mul_f32 v[118:119], v[54:55], v[80:81] op_sel_hi:[1,0]
	v_pk_add_f32 v[68:69], v[68:69], v[122:123] neg_lo:[0,1] neg_hi:[0,1]
	v_pk_fma_f32 v[126:127], v[54:55], v[46:47], v[118:119] op_sel:[0,0,1] op_sel_hi:[1,1,0] neg_lo:[0,0,1] neg_hi:[0,0,1]
	v_pk_fma_f32 v[54:55], v[54:55], v[46:47], v[118:119] op_sel:[0,0,1] op_sel_hi:[1,0,0]
	v_pk_add_f32 v[122:123], v[62:63], v[66:67]
	v_mov_b32_e32 v127, v55
	v_pk_add_f32 v[54:55], v[128:129], v[126:127]
	v_pk_add_f32 v[62:63], v[62:63], v[66:67] neg_lo:[0,1] neg_hi:[0,1]
	v_pk_add_f32 v[66:67], v[122:123], v[24:25] neg_lo:[0,1] neg_hi:[0,1]
	v_pk_add_f32 v[118:119], v[122:123], v[24:25]
	v_mov_b32_e32 v133, v25
	v_mov_b32_e32 v134, v122
	;; [unrolled: 1-line block ×6, first 2 shown]
	v_pk_add_f32 v[24:25], v[24:25], v[122:123] neg_lo:[0,1] neg_hi:[0,1]
	v_pk_add_f32 v[122:123], v[126:127], v[128:129] neg_lo:[0,1] neg_hi:[0,1]
	;; [unrolled: 1-line block ×3, first 2 shown]
	v_mov_b32_e32 v128, v123
	v_mov_b32_e32 v129, v68
	;; [unrolled: 1-line block ×4, first 2 shown]
	v_pk_add_f32 v[126:127], v[122:123], v[62:63] op_sel:[1,1] op_sel_hi:[0,0]
	v_pk_add_f32 v[128:129], v[128:129], v[134:135] neg_lo:[0,1] neg_hi:[0,1]
	v_mov_b32_e32 v134, v69
	v_mov_b32_e32 v122, v123
	;; [unrolled: 1-line block ×3, first 2 shown]
	v_pk_add_f32 v[124:125], v[62:63], v[68:69] op_sel:[1,1] op_sel_hi:[0,0] neg_lo:[0,1] neg_hi:[0,1]
	v_pk_add_f32 v[62:63], v[134:135], v[122:123] neg_lo:[0,1] neg_hi:[0,1]
	v_pk_add_f32 v[54:55], v[54:55], v[118:119]
	v_pk_add_f32 v[68:69], v[126:127], v[68:69] op_sel:[0,1] op_sel_hi:[1,0]
	v_pk_mul_f32 v[118:119], v[132:133], s[16:17]
	v_pk_mul_f32 v[122:123], v[24:25], s[18:19]
	;; [unrolled: 1-line block ×4, first 2 shown]
	v_pk_add_f32 v[50:51], v[50:51], v[54:55]
	v_mov_b32_e32 v132, v122
	v_mov_b32_e32 v133, v119
	v_mov_b32_e32 v134, v126
	v_mov_b32_e32 v135, v129
	v_pk_fma_f32 v[54:55], v[54:55], s[14:15], v[50:51] op_sel_hi:[1,0,1] neg_lo:[1,0,0] neg_hi:[1,0,0]
	v_pk_fma_f32 v[24:25], v[24:25], s[18:19], v[118:119]
	v_pk_fma_f32 v[132:133], v[66:67], s[12:13], v[132:133] op_sel_hi:[1,0,1] neg_lo:[1,0,1] neg_hi:[1,0,1]
	v_pk_fma_f32 v[62:63], v[62:63], s[20:21], v[128:129]
	v_pk_fma_f32 v[134:135], v[124:125], s[8:9], v[134:135] op_sel_hi:[1,0,1] neg_lo:[1,0,1] neg_hi:[1,0,1]
	v_pk_add_f32 v[24:25], v[24:25], v[54:55]
	v_pk_add_f32 v[132:133], v[132:133], v[54:55]
	v_pk_fma_f32 v[62:63], v[68:69], s[0:1], v[62:63] op_sel_hi:[1,0,1]
	v_pk_fma_f32 v[134:135], v[68:69], s[0:1], v[134:135] op_sel_hi:[1,0,1]
	v_pk_add_f32 v[70:71], v[52:53], v[60:61] neg_lo:[0,1] neg_hi:[0,1]
	v_pk_add_f32 v[52:53], v[52:53], v[60:61]
	v_pk_add_f32 v[136:137], v[132:133], v[134:135]
	v_pk_add_f32 v[132:133], v[132:133], v[134:135] neg_lo:[0,1] neg_hi:[0,1]
	v_pk_add_f32 v[134:135], v[24:25], v[62:63] neg_lo:[0,1] neg_hi:[0,1]
	v_pk_add_f32 v[62:63], v[24:25], v[62:63]
	v_mov_b32_e32 v138, v120
	v_mov_b32_e32 v139, v79
	;; [unrolled: 1-line block ×10, first 2 shown]
	ds_write2_b64 v190, v[138:139], v[140:141] offset0:26 offset1:52
	ds_write2_b64 v190, v[60:61], v[52:53] offset0:78 offset1:104
	;; [unrolled: 1-line block ×3, first 2 shown]
	ds_write2_b64 v190, v[48:49], v[50:51] offset1:13
	v_mov_b32_e32 v63, v135
	v_mov_b32_e32 v48, v136
	;; [unrolled: 1-line block ×5, first 2 shown]
	ds_write2_b64 v130, v[62:63], v[48:49] offset0:39 offset1:65
	v_pk_fma_f32 v[48:49], v[66:67], s[12:13], v[118:119] op_sel_hi:[1,0,1] neg_lo:[0,0,1] neg_hi:[0,0,1]
	v_pk_fma_f32 v[50:51], v[124:125], s[8:9], v[128:129] op_sel_hi:[1,0,1] neg_lo:[0,0,1] neg_hi:[0,0,1]
	v_pk_add_f32 v[48:49], v[48:49], v[54:55]
	v_pk_fma_f32 v[50:51], v[68:69], s[0:1], v[50:51] op_sel_hi:[1,0,1]
	v_mov_b32_e32 v24, v134
	v_pk_add_f32 v[52:53], v[48:49], v[50:51] neg_lo:[0,1] neg_hi:[0,1]
	v_pk_add_f32 v[48:49], v[48:49], v[50:51]
	v_mov_b32_e32 v50, v52
	v_mov_b32_e32 v51, v49
	;; [unrolled: 1-line block ×4, first 2 shown]
	ds_write2_b64 v130, v[50:51], v[48:49] offset0:91 offset1:117
	ds_write2_b64 v130, v[132:133], v[24:25] offset0:143 offset1:169
	s_waitcnt lgkmcnt(0)
	; wave barrier
	s_waitcnt lgkmcnt(0)
	global_load_dwordx2 v[52:53], v[56:57], off offset:1456
	s_add_u32 s0, s2, 0x5b0
	s_addc_u32 s1, s3, 0
	global_load_dwordx2 v[56:57], v58, s[0:1] offset:112
	global_load_dwordx2 v[60:61], v58, s[0:1] offset:224
	global_load_dwordx2 v[62:63], v58, s[0:1] offset:336
	global_load_dwordx2 v[64:65], v58, s[0:1] offset:448
	global_load_dwordx2 v[66:67], v58, s[0:1] offset:560
	global_load_dwordx2 v[68:69], v58, s[0:1] offset:672
	global_load_dwordx2 v[70:71], v58, s[0:1] offset:784
	global_load_dwordx2 v[72:73], v58, s[0:1] offset:896
	global_load_dwordx2 v[74:75], v58, s[0:1] offset:1008
	global_load_dwordx2 v[76:77], v58, s[0:1] offset:1120
	global_load_dwordx2 v[78:79], v58, s[0:1] offset:1232
	global_load_dwordx2 v[80:81], v58, s[0:1] offset:1344
	ds_read2_b64 v[48:51], v190 offset1:14
	s_waitcnt vmcnt(12) lgkmcnt(0)
	v_mul_f32_e32 v54, v49, v53
	v_mul_f32_e32 v59, v48, v53
	v_fma_f32 v58, v48, v52, -v54
	v_fmac_f32_e32 v59, v49, v52
	ds_read2_b64 v[52:55], v190 offset0:28 offset1:42
	s_waitcnt vmcnt(11)
	v_mul_f32_e32 v48, v51, v57
	v_mul_f32_e32 v49, v50, v57
	v_fma_f32 v48, v50, v56, -v48
	v_fmac_f32_e32 v49, v51, v56
	ds_write2_b64 v190, v[58:59], v[48:49] offset1:14
	s_waitcnt vmcnt(10) lgkmcnt(1)
	v_mul_f32_e32 v48, v53, v61
	v_fma_f32 v56, v52, v60, -v48
	ds_read2_b64 v[48:51], v190 offset0:56 offset1:70
	v_mul_f32_e32 v57, v52, v61
	v_fmac_f32_e32 v57, v53, v60
	s_waitcnt vmcnt(9)
	v_mul_f32_e32 v52, v55, v63
	v_mul_f32_e32 v53, v54, v63
	v_fma_f32 v52, v54, v62, -v52
	v_fmac_f32_e32 v53, v55, v62
	ds_write2_b64 v190, v[56:57], v[52:53] offset0:28 offset1:42
	s_waitcnt vmcnt(8) lgkmcnt(1)
	v_mul_f32_e32 v52, v49, v65
	v_fma_f32 v56, v48, v64, -v52
	ds_read2_b64 v[52:55], v190 offset0:84 offset1:98
	v_mul_f32_e32 v57, v48, v65
	v_fmac_f32_e32 v57, v49, v64
	s_waitcnt vmcnt(7)
	v_mul_f32_e32 v48, v51, v67
	v_mul_f32_e32 v49, v50, v67
	v_fma_f32 v48, v50, v66, -v48
	v_fmac_f32_e32 v49, v51, v66
	ds_write2_b64 v190, v[56:57], v[48:49] offset0:56 offset1:70
	s_waitcnt vmcnt(6) lgkmcnt(1)
	v_mul_f32_e32 v48, v53, v69
	v_fma_f32 v56, v52, v68, -v48
	ds_read2_b64 v[48:51], v190 offset0:112 offset1:126
	v_mul_f32_e32 v57, v52, v69
	v_fmac_f32_e32 v57, v53, v68
	s_waitcnt vmcnt(5)
	v_mul_f32_e32 v52, v55, v71
	v_mul_f32_e32 v53, v54, v71
	v_fma_f32 v52, v54, v70, -v52
	v_fmac_f32_e32 v53, v55, v70
	ds_write2_b64 v190, v[56:57], v[52:53] offset0:84 offset1:98
	s_waitcnt vmcnt(4) lgkmcnt(1)
	v_mul_f32_e32 v52, v49, v73
	v_fma_f32 v56, v48, v72, -v52
	ds_read2_b64 v[52:55], v190 offset0:140 offset1:154
	v_mul_f32_e32 v57, v48, v73
	v_fmac_f32_e32 v57, v49, v72
	s_waitcnt vmcnt(3)
	v_mul_f32_e32 v48, v51, v75
	v_mul_f32_e32 v49, v50, v75
	v_fma_f32 v48, v50, v74, -v48
	v_fmac_f32_e32 v49, v51, v74
	ds_read_b64 v[50:51], v190 offset:1344
	ds_write2_b64 v190, v[56:57], v[48:49] offset0:112 offset1:126
	s_waitcnt vmcnt(2) lgkmcnt(2)
	v_mul_f32_e32 v48, v53, v77
	v_mul_f32_e32 v49, v52, v77
	v_fma_f32 v48, v52, v76, -v48
	v_fmac_f32_e32 v49, v53, v76
	s_waitcnt vmcnt(1)
	v_mul_f32_e32 v52, v55, v79
	v_mul_f32_e32 v53, v54, v79
	v_fma_f32 v52, v54, v78, -v52
	v_fmac_f32_e32 v53, v55, v78
	ds_write2_b64 v190, v[48:49], v[52:53] offset0:140 offset1:154
	s_waitcnt vmcnt(0) lgkmcnt(2)
	v_mul_f32_e32 v48, v51, v81
	v_mul_f32_e32 v49, v50, v81
	v_fma_f32 v48, v50, v80, -v48
	v_fmac_f32_e32 v49, v51, v80
	ds_write_b64 v190, v[48:49] offset:1344
	s_and_saveexec_b64 s[0:1], vcc
	s_cbranch_execz .LBB0_9
; %bb.8:
	ds_read2_b64 v[48:51], v85 offset0:13 offset1:27
	s_load_dwordx2 s[8:9], s[2:3], 0x618
	s_load_dwordx2 s[12:13], s[2:3], 0x688
	;; [unrolled: 1-line block ×4, first 2 shown]
	s_waitcnt lgkmcnt(0)
	v_mul_f32_e32 v52, s9, v49
	v_fma_f32 v56, v48, s8, -v52
	ds_read2_b64 v[52:55], v85 offset0:41 offset1:55
	v_mul_f32_e32 v57, s9, v48
	v_fmac_f32_e32 v57, s8, v49
	v_mul_f32_e32 v48, s13, v51
	v_mul_f32_e32 v49, s13, v50
	v_fma_f32 v48, v50, s12, -v48
	v_fmac_f32_e32 v49, s12, v51
	ds_write2_b64 v85, v[56:57], v[48:49] offset0:13 offset1:27
	s_waitcnt lgkmcnt(1)
	v_mul_f32_e32 v48, s15, v53
	v_fma_f32 v56, v52, s14, -v48
	v_mul_f32_e32 v48, s17, v55
	v_mul_f32_e32 v57, s15, v52
	v_fma_f32 v52, v54, s16, -v48
	ds_read2_b64 v[48:51], v85 offset0:69 offset1:83
	s_load_dwordx2 s[8:9], s[2:3], 0x7d8
	v_fmac_f32_e32 v57, s14, v53
	v_mul_f32_e32 v53, s17, v54
	v_fmac_f32_e32 v53, s16, v55
	ds_write2_b64 v85, v[56:57], v[52:53] offset0:41 offset1:55
	s_waitcnt lgkmcnt(0)
	v_mul_f32_e32 v52, s9, v49
	s_load_dwordx2 s[12:13], s[2:3], 0x848
	s_load_dwordx2 s[14:15], s[2:3], 0x8b8
	;; [unrolled: 1-line block ×3, first 2 shown]
	v_fma_f32 v56, v48, s8, -v52
	ds_read2_b64 v[52:55], v85 offset0:97 offset1:111
	v_mul_f32_e32 v57, s9, v48
	v_fmac_f32_e32 v57, s8, v49
	s_waitcnt lgkmcnt(0)
	v_mul_f32_e32 v48, s13, v51
	v_mul_f32_e32 v49, s13, v50
	v_fma_f32 v48, v50, s12, -v48
	v_fmac_f32_e32 v49, s12, v51
	ds_write2_b64 v85, v[56:57], v[48:49] offset0:69 offset1:83
	v_mul_f32_e32 v48, s15, v53
	v_fma_f32 v56, v52, s14, -v48
	v_mul_f32_e32 v48, s17, v55
	v_mul_f32_e32 v57, s15, v52
	v_fma_f32 v52, v54, s16, -v48
	ds_read2_b64 v[48:51], v85 offset0:125 offset1:139
	s_load_dwordx2 s[8:9], s[2:3], 0x998
	v_fmac_f32_e32 v57, s14, v53
	v_mul_f32_e32 v53, s17, v54
	v_fmac_f32_e32 v53, s16, v55
	ds_write2_b64 v85, v[56:57], v[52:53] offset0:97 offset1:111
	s_load_dwordx2 s[12:13], s[2:3], 0xa08
	s_load_dwordx2 s[14:15], s[2:3], 0xa78
	s_load_dwordx2 s[16:17], s[2:3], 0xae8
	s_waitcnt lgkmcnt(0)
	v_mul_f32_e32 v52, s9, v49
	v_fma_f32 v56, v48, s8, -v52
	ds_read2_b64 v[52:55], v85 offset0:153 offset1:167
	v_mul_f32_e32 v57, s9, v48
	v_fmac_f32_e32 v57, s8, v49
	v_mul_f32_e32 v48, s13, v51
	v_mul_f32_e32 v49, s13, v50
	v_fma_f32 v48, v50, s12, -v48
	v_fmac_f32_e32 v49, s12, v51
	ds_read_b64 v[50:51], v85 offset:1448
	s_load_dwordx2 s[8:9], s[2:3], 0xb58
	ds_write2_b64 v85, v[56:57], v[48:49] offset0:125 offset1:139
	s_waitcnt lgkmcnt(0)
	v_mul_f32_e32 v48, s15, v53
	v_mul_f32_e32 v49, s15, v52
	v_fma_f32 v48, v52, s14, -v48
	v_fmac_f32_e32 v49, s14, v53
	v_mul_f32_e32 v52, s17, v55
	v_mul_f32_e32 v53, s17, v54
	v_fma_f32 v52, v54, s16, -v52
	v_fmac_f32_e32 v53, s16, v55
	ds_write2_b64 v85, v[48:49], v[52:53] offset0:153 offset1:167
	v_mul_f32_e32 v48, s9, v51
	v_mul_f32_e32 v49, s9, v50
	v_fma_f32 v48, v50, s8, -v48
	v_fmac_f32_e32 v49, s8, v51
	ds_write_b64 v85, v[48:49] offset:1448
.LBB0_9:
	s_or_b64 exec, exec, s[0:1]
	s_waitcnt lgkmcnt(0)
	; wave barrier
	s_waitcnt lgkmcnt(0)
	ds_read2_b64 v[48:51], v190 offset1:14
	ds_read2_b64 v[64:67], v190 offset0:28 offset1:42
	ds_read2_b64 v[56:59], v190 offset0:56 offset1:70
	;; [unrolled: 1-line block ×5, first 2 shown]
	ds_read_b64 v[128:129], v190 offset:1344
	s_and_saveexec_b64 s[0:1], vcc
	s_cbranch_execz .LBB0_11
; %bb.10:
	ds_read2_b64 v[24:27], v85 offset0:13 offset1:27
	ds_read2_b64 v[0:3], v85 offset0:41 offset1:55
	;; [unrolled: 1-line block ×6, first 2 shown]
	ds_read_b64 v[114:115], v85 offset:1448
.LBB0_11:
	s_or_b64 exec, exec, s[0:1]
	s_waitcnt lgkmcnt(6)
	v_pk_add_f32 v[72:73], v[48:49], v[50:51]
	s_waitcnt lgkmcnt(0)
	v_pk_add_f32 v[76:77], v[50:51], v[128:129] neg_lo:[0,1] neg_hi:[0,1]
	v_pk_add_f32 v[72:73], v[72:73], v[64:65]
	s_mov_b32 s42, 0xbeedf032
	v_pk_add_f32 v[72:73], v[72:73], v[66:67]
	v_pk_add_f32 v[74:75], v[128:129], v[50:51]
	v_pk_add_f32 v[72:73], v[72:73], v[56:57]
	s_mov_b32 s0, 0x3f62ad3f
	v_pk_add_f32 v[72:73], v[72:73], v[58:59]
	v_pk_mul_f32 v[78:79], v[76:77], s[42:43] op_sel_hi:[1,0]
	v_pk_add_f32 v[72:73], v[72:73], v[52:53]
	v_pk_add_f32 v[86:87], v[64:65], v[70:71] neg_lo:[0,1] neg_hi:[0,1]
	v_pk_add_f32 v[72:73], v[72:73], v[54:55]
	s_mov_b32 s22, 0xbf52af12
	v_pk_add_f32 v[72:73], v[72:73], v[60:61]
	v_pk_fma_f32 v[50:51], v[74:75], s[0:1], v[78:79] op_sel:[0,0,1] op_sel_hi:[1,0,0]
	v_pk_add_f32 v[72:73], v[72:73], v[62:63]
	v_pk_add_f32 v[80:81], v[70:71], v[64:65]
	;; [unrolled: 1-line block ×3, first 2 shown]
	s_mov_b32 s8, 0x3f116cb1
	v_pk_add_f32 v[72:73], v[72:73], v[70:71]
	v_pk_mul_f32 v[70:71], v[86:87], s[22:23] op_sel_hi:[1,0]
	v_pk_add_f32 v[72:73], v[72:73], v[128:129]
	v_pk_fma_f32 v[128:129], v[74:75], s[0:1], v[78:79] op_sel:[0,0,1] op_sel_hi:[1,0,0] neg_lo:[0,0,1] neg_hi:[0,0,1]
	v_pk_add_f32 v[162:163], v[66:67], v[68:69] neg_lo:[0,1] neg_hi:[0,1]
	s_mov_b32 s30, 0xbf7e222b
	v_mov_b32_e32 v78, v50
	v_mov_b32_e32 v79, v129
	v_pk_fma_f32 v[64:65], v[80:81], s[8:9], v[70:71] op_sel:[0,0,1] op_sel_hi:[1,0,0]
	v_pk_fma_f32 v[70:71], v[80:81], s[8:9], v[70:71] op_sel:[0,0,1] op_sel_hi:[1,0,0] neg_lo:[0,0,1] neg_hi:[0,0,1]
	v_pk_add_f32 v[160:161], v[68:69], v[66:67]
	s_mov_b32 s12, 0x3df6dbef
	v_pk_mul_f32 v[68:69], v[162:163], s[30:31] op_sel_hi:[1,0]
	v_pk_add_f32 v[166:167], v[56:57], v[62:63] neg_lo:[0,1] neg_hi:[0,1]
	s_mov_b32 s16, 0xbf6f5d39
	v_add_u32_e32 v159, 0x68, v130
	v_pk_add_f32 v[78:79], v[48:49], v[78:79]
	v_mov_b32_e32 v130, v64
	v_mov_b32_e32 v131, v71
	v_pk_fma_f32 v[66:67], v[160:161], s[12:13], v[68:69] op_sel:[0,0,1] op_sel_hi:[1,0,0]
	v_pk_fma_f32 v[68:69], v[160:161], s[12:13], v[68:69] op_sel:[0,0,1] op_sel_hi:[1,0,0] neg_lo:[0,0,1] neg_hi:[0,0,1]
	v_pk_add_f32 v[164:165], v[62:63], v[56:57]
	s_mov_b32 s14, 0xbeb58ec6
	v_pk_mul_f32 v[62:63], v[166:167], s[16:17] op_sel_hi:[1,0]
	v_pk_add_f32 v[170:171], v[58:59], v[60:61] neg_lo:[0,1] neg_hi:[0,1]
	s_mov_b32 s20, 0xbf29c268
	v_pk_add_f32 v[78:79], v[130:131], v[78:79]
	v_mov_b32_e32 v130, v66
	v_mov_b32_e32 v131, v69
	v_pk_fma_f32 v[56:57], v[164:165], s[14:15], v[62:63] op_sel:[0,0,1] op_sel_hi:[1,0,0]
	v_pk_fma_f32 v[62:63], v[164:165], s[14:15], v[62:63] op_sel:[0,0,1] op_sel_hi:[1,0,0] neg_lo:[0,0,1] neg_hi:[0,0,1]
	v_pk_add_f32 v[168:169], v[60:61], v[58:59]
	s_mov_b32 s18, 0xbf3f9e67
	v_pk_mul_f32 v[60:61], v[170:171], s[20:21] op_sel_hi:[1,0]
	v_pk_add_f32 v[174:175], v[52:53], v[54:55] neg_lo:[0,1] neg_hi:[0,1]
	s_mov_b32 s26, 0xbe750f2a
	v_pk_add_f32 v[78:79], v[130:131], v[78:79]
	v_mov_b32_e32 v130, v56
	v_mov_b32_e32 v131, v63
	v_pk_fma_f32 v[58:59], v[168:169], s[18:19], v[60:61] op_sel:[0,0,1] op_sel_hi:[1,0,0]
	v_pk_fma_f32 v[60:61], v[168:169], s[18:19], v[60:61] op_sel:[0,0,1] op_sel_hi:[1,0,0] neg_lo:[0,0,1] neg_hi:[0,0,1]
	v_pk_add_f32 v[172:173], v[54:55], v[52:53]
	s_mov_b32 s24, 0xbf788fa5
	v_pk_mul_f32 v[54:55], v[174:175], s[26:27] op_sel_hi:[1,0]
	v_pk_add_f32 v[78:79], v[130:131], v[78:79]
	v_mov_b32_e32 v130, v58
	v_mov_b32_e32 v131, v61
	v_pk_fma_f32 v[52:53], v[172:173], s[24:25], v[54:55] op_sel:[0,0,1] op_sel_hi:[1,0,0]
	v_pk_fma_f32 v[54:55], v[172:173], s[24:25], v[54:55] op_sel:[0,0,1] op_sel_hi:[1,0,0] neg_lo:[0,0,1] neg_hi:[0,0,1]
	v_pk_add_f32 v[78:79], v[130:131], v[78:79]
	v_mov_b32_e32 v130, v52
	v_mov_b32_e32 v131, v55
	v_pk_add_f32 v[78:79], v[130:131], v[78:79]
	s_waitcnt lgkmcnt(0)
	; wave barrier
	ds_write2_b64 v192, v[72:73], v[78:79] offset1:1
	v_pk_mul_f32 v[72:73], v[76:77], s[22:23] op_sel_hi:[1,0]
	v_pk_mul_f32 v[78:79], v[86:87], s[16:17] op_sel_hi:[1,0]
	v_pk_fma_f32 v[130:131], v[74:75], s[8:9], v[72:73] op_sel:[0,0,1] op_sel_hi:[1,0,0]
	v_pk_fma_f32 v[132:133], v[74:75], s[8:9], v[72:73] op_sel:[0,0,1] op_sel_hi:[1,0,0] neg_lo:[0,0,1] neg_hi:[0,0,1]
	v_mov_b32_e32 v72, v130
	v_mov_b32_e32 v73, v133
	v_pk_fma_f32 v[134:135], v[80:81], s[14:15], v[78:79] op_sel:[0,0,1] op_sel_hi:[1,0,0]
	v_pk_fma_f32 v[136:137], v[80:81], s[14:15], v[78:79] op_sel:[0,0,1] op_sel_hi:[1,0,0] neg_lo:[0,0,1] neg_hi:[0,0,1]
	v_pk_add_f32 v[72:73], v[48:49], v[72:73]
	v_mov_b32_e32 v78, v134
	v_mov_b32_e32 v79, v137
	v_pk_add_f32 v[72:73], v[78:79], v[72:73]
	v_pk_mul_f32 v[78:79], v[162:163], s[26:27] op_sel_hi:[1,0]
	s_mov_b32 s36, 0x3f29c268
	v_pk_fma_f32 v[138:139], v[160:161], s[24:25], v[78:79] op_sel:[0,0,1] op_sel_hi:[1,0,0]
	v_pk_fma_f32 v[140:141], v[160:161], s[24:25], v[78:79] op_sel:[0,0,1] op_sel_hi:[1,0,0] neg_lo:[0,0,1] neg_hi:[0,0,1]
	v_mov_b32_e32 v78, v138
	v_mov_b32_e32 v79, v141
	v_pk_add_f32 v[72:73], v[78:79], v[72:73]
	v_pk_mul_f32 v[78:79], v[166:167], s[36:37] op_sel_hi:[1,0]
	s_mov_b32 s28, 0x3f7e222b
	v_pk_fma_f32 v[142:143], v[164:165], s[18:19], v[78:79] op_sel:[0,0,1] op_sel_hi:[1,0,0]
	v_pk_fma_f32 v[144:145], v[164:165], s[18:19], v[78:79] op_sel:[0,0,1] op_sel_hi:[1,0,0] neg_lo:[0,0,1] neg_hi:[0,0,1]
	v_mov_b32_e32 v78, v142
	v_mov_b32_e32 v79, v145
	v_pk_add_f32 v[72:73], v[78:79], v[72:73]
	v_pk_mul_f32 v[78:79], v[170:171], s[28:29] op_sel_hi:[1,0]
	v_pk_mul_f32 v[180:181], v[86:87], s[26:27] op_sel_hi:[1,0]
	v_pk_fma_f32 v[146:147], v[168:169], s[12:13], v[78:79] op_sel:[0,0,1] op_sel_hi:[1,0,0]
	v_pk_fma_f32 v[148:149], v[168:169], s[12:13], v[78:79] op_sel:[0,0,1] op_sel_hi:[1,0,0] neg_lo:[0,0,1] neg_hi:[0,0,1]
	v_mov_b32_e32 v78, v146
	v_mov_b32_e32 v79, v149
	v_pk_add_f32 v[72:73], v[78:79], v[72:73]
	v_pk_mul_f32 v[78:79], v[174:175], s[34:35] op_sel_hi:[1,0]
	v_pk_fma_f32 v[182:183], v[80:81], s[24:25], v[180:181] op_sel:[0,0,1] op_sel_hi:[1,0,0]
	v_pk_fma_f32 v[150:151], v[172:173], s[0:1], v[78:79] op_sel:[0,0,1] op_sel_hi:[1,0,0]
	v_pk_fma_f32 v[152:153], v[172:173], s[0:1], v[78:79] op_sel:[0,0,1] op_sel_hi:[1,0,0] neg_lo:[0,0,1] neg_hi:[0,0,1]
	v_mov_b32_e32 v78, v150
	v_mov_b32_e32 v79, v153
	v_pk_add_f32 v[72:73], v[78:79], v[72:73]
	v_pk_mul_f32 v[78:79], v[76:77], s[30:31] op_sel_hi:[1,0]
	v_pk_fma_f32 v[180:181], v[80:81], s[24:25], v[180:181] op_sel:[0,0,1] op_sel_hi:[1,0,0] neg_lo:[0,0,1] neg_hi:[0,0,1]
	v_pk_fma_f32 v[176:177], v[74:75], s[12:13], v[78:79] op_sel:[0,0,1] op_sel_hi:[1,0,0]
	v_pk_fma_f32 v[78:79], v[74:75], s[12:13], v[78:79] op_sel:[0,0,1] op_sel_hi:[1,0,0] neg_lo:[0,0,1] neg_hi:[0,0,1]
	v_mov_b32_e32 v178, v176
	v_mov_b32_e32 v179, v79
	v_pk_add_f32 v[178:179], v[48:49], v[178:179]
	v_mov_b32_e32 v184, v182
	v_mov_b32_e32 v185, v181
	s_mov_b32 s44, 0x3f6f5d39
	v_pk_add_f32 v[178:179], v[184:185], v[178:179]
	v_pk_mul_f32 v[184:185], v[162:163], s[44:45] op_sel_hi:[1,0]
	v_pk_mul_f32 v[206:207], v[86:87], s[36:37] op_sel_hi:[1,0]
	v_pk_fma_f32 v[186:187], v[160:161], s[14:15], v[184:185] op_sel:[0,0,1] op_sel_hi:[1,0,0]
	v_pk_fma_f32 v[184:185], v[160:161], s[14:15], v[184:185] op_sel:[0,0,1] op_sel_hi:[1,0,0] neg_lo:[0,0,1] neg_hi:[0,0,1]
	v_mov_b32_e32 v188, v186
	v_mov_b32_e32 v189, v185
	v_pk_add_f32 v[178:179], v[188:189], v[178:179]
	v_pk_mul_f32 v[188:189], v[166:167], s[34:35] op_sel_hi:[1,0]
	v_pk_fma_f32 v[208:209], v[80:81], s[18:19], v[206:207] op_sel:[0,0,1] op_sel_hi:[1,0,0]
	v_pk_fma_f32 v[194:195], v[164:165], s[0:1], v[188:189] op_sel:[0,0,1] op_sel_hi:[1,0,0]
	v_pk_fma_f32 v[188:189], v[164:165], s[0:1], v[188:189] op_sel:[0,0,1] op_sel_hi:[1,0,0] neg_lo:[0,0,1] neg_hi:[0,0,1]
	v_mov_b32_e32 v196, v194
	v_mov_b32_e32 v197, v189
	v_pk_add_f32 v[178:179], v[196:197], v[178:179]
	v_pk_mul_f32 v[196:197], v[170:171], s[22:23] op_sel_hi:[1,0]
	v_pk_fma_f32 v[206:207], v[80:81], s[18:19], v[206:207] op_sel:[0,0,1] op_sel_hi:[1,0,0] neg_lo:[0,0,1] neg_hi:[0,0,1]
	v_pk_fma_f32 v[198:199], v[168:169], s[8:9], v[196:197] op_sel:[0,0,1] op_sel_hi:[1,0,0]
	v_pk_fma_f32 v[196:197], v[168:169], s[8:9], v[196:197] op_sel:[0,0,1] op_sel_hi:[1,0,0] neg_lo:[0,0,1] neg_hi:[0,0,1]
	v_mov_b32_e32 v200, v198
	v_mov_b32_e32 v201, v197
	v_pk_add_f32 v[178:179], v[200:201], v[178:179]
	v_pk_mul_f32 v[200:201], v[174:175], s[20:21] op_sel_hi:[1,0]
	v_mov_b32_e32 v210, v208
	v_pk_fma_f32 v[202:203], v[172:173], s[18:19], v[200:201] op_sel:[0,0,1] op_sel_hi:[1,0,0]
	v_pk_fma_f32 v[200:201], v[172:173], s[18:19], v[200:201] op_sel:[0,0,1] op_sel_hi:[1,0,0] neg_lo:[0,0,1] neg_hi:[0,0,1]
	v_mov_b32_e32 v204, v202
	v_mov_b32_e32 v205, v201
	v_pk_add_f32 v[178:179], v[204:205], v[178:179]
	ds_write2_b64 v192, v[72:73], v[178:179] offset0:2 offset1:3
	v_pk_mul_f32 v[72:73], v[76:77], s[16:17] op_sel_hi:[1,0]
	v_mov_b32_e32 v211, v207
	v_pk_fma_f32 v[178:179], v[74:75], s[14:15], v[72:73] op_sel:[0,0,1] op_sel_hi:[1,0,0]
	v_pk_fma_f32 v[72:73], v[74:75], s[14:15], v[72:73] op_sel:[0,0,1] op_sel_hi:[1,0,0] neg_lo:[0,0,1] neg_hi:[0,0,1]
	v_mov_b32_e32 v204, v178
	v_mov_b32_e32 v205, v73
	v_pk_add_f32 v[204:205], v[48:49], v[204:205]
	s_mov_b32 s38, 0x3f52af12
	v_pk_add_f32 v[204:205], v[210:211], v[204:205]
	v_pk_mul_f32 v[210:211], v[162:163], s[34:35] op_sel_hi:[1,0]
	v_pk_mul_f32 v[232:233], v[86:87], s[28:29] op_sel_hi:[1,0]
	v_pk_fma_f32 v[212:213], v[160:161], s[0:1], v[210:211] op_sel:[0,0,1] op_sel_hi:[1,0,0]
	v_pk_fma_f32 v[210:211], v[160:161], s[0:1], v[210:211] op_sel:[0,0,1] op_sel_hi:[1,0,0] neg_lo:[0,0,1] neg_hi:[0,0,1]
	v_mov_b32_e32 v214, v212
	v_mov_b32_e32 v215, v211
	v_pk_add_f32 v[204:205], v[214:215], v[204:205]
	v_pk_mul_f32 v[214:215], v[166:167], s[30:31] op_sel_hi:[1,0]
	v_pk_fma_f32 v[234:235], v[80:81], s[12:13], v[232:233] op_sel:[0,0,1] op_sel_hi:[1,0,0]
	v_pk_fma_f32 v[216:217], v[164:165], s[12:13], v[214:215] op_sel:[0,0,1] op_sel_hi:[1,0,0]
	v_pk_fma_f32 v[214:215], v[164:165], s[12:13], v[214:215] op_sel:[0,0,1] op_sel_hi:[1,0,0] neg_lo:[0,0,1] neg_hi:[0,0,1]
	v_mov_b32_e32 v218, v216
	v_mov_b32_e32 v219, v215
	v_pk_add_f32 v[204:205], v[218:219], v[204:205]
	v_pk_mul_f32 v[218:219], v[170:171], s[40:41] op_sel_hi:[1,0]
	v_pk_fma_f32 v[232:233], v[80:81], s[12:13], v[232:233] op_sel:[0,0,1] op_sel_hi:[1,0,0] neg_lo:[0,0,1] neg_hi:[0,0,1]
	v_pk_fma_f32 v[220:221], v[168:169], s[24:25], v[218:219] op_sel:[0,0,1] op_sel_hi:[1,0,0]
	v_pk_fma_f32 v[218:219], v[168:169], s[24:25], v[218:219] op_sel:[0,0,1] op_sel_hi:[1,0,0] neg_lo:[0,0,1] neg_hi:[0,0,1]
	v_mov_b32_e32 v222, v220
	v_mov_b32_e32 v223, v219
	v_pk_add_f32 v[204:205], v[222:223], v[204:205]
	v_pk_mul_f32 v[222:223], v[174:175], s[38:39] op_sel_hi:[1,0]
	v_mov_b32_e32 v236, v234
	v_pk_fma_f32 v[224:225], v[172:173], s[8:9], v[222:223] op_sel:[0,0,1] op_sel_hi:[1,0,0]
	v_pk_fma_f32 v[222:223], v[172:173], s[8:9], v[222:223] op_sel:[0,0,1] op_sel_hi:[1,0,0] neg_lo:[0,0,1] neg_hi:[0,0,1]
	v_mov_b32_e32 v226, v224
	v_mov_b32_e32 v227, v223
	v_pk_add_f32 v[204:205], v[226:227], v[204:205]
	v_pk_mul_f32 v[226:227], v[76:77], s[20:21] op_sel_hi:[1,0]
	v_mov_b32_e32 v237, v233
	v_pk_fma_f32 v[228:229], v[74:75], s[18:19], v[226:227] op_sel:[0,0,1] op_sel_hi:[1,0,0]
	v_pk_fma_f32 v[226:227], v[74:75], s[18:19], v[226:227] op_sel:[0,0,1] op_sel_hi:[1,0,0] neg_lo:[0,0,1] neg_hi:[0,0,1]
	v_mov_b32_e32 v230, v228
	v_mov_b32_e32 v231, v227
	v_pk_add_f32 v[230:231], v[48:49], v[230:231]
	v_pk_mul_f32 v[76:77], v[76:77], s[26:27] op_sel_hi:[1,0]
	v_pk_add_f32 v[230:231], v[236:237], v[230:231]
	v_pk_mul_f32 v[236:237], v[162:163], s[22:23] op_sel_hi:[1,0]
	v_pk_mul_f32 v[86:87], v[86:87], s[34:35] op_sel_hi:[1,0]
	v_pk_fma_f32 v[238:239], v[160:161], s[8:9], v[236:237] op_sel:[0,0,1] op_sel_hi:[1,0,0]
	v_pk_fma_f32 v[236:237], v[160:161], s[8:9], v[236:237] op_sel:[0,0,1] op_sel_hi:[1,0,0] neg_lo:[0,0,1] neg_hi:[0,0,1]
	v_mov_b32_e32 v240, v238
	v_mov_b32_e32 v241, v237
	v_pk_add_f32 v[230:231], v[240:241], v[230:231]
	v_pk_mul_f32 v[240:241], v[166:167], s[40:41] op_sel_hi:[1,0]
	v_mov_b32_e32 v227, v229
	v_pk_fma_f32 v[242:243], v[164:165], s[24:25], v[240:241] op_sel:[0,0,1] op_sel_hi:[1,0,0]
	v_pk_fma_f32 v[240:241], v[164:165], s[24:25], v[240:241] op_sel:[0,0,1] op_sel_hi:[1,0,0] neg_lo:[0,0,1] neg_hi:[0,0,1]
	v_mov_b32_e32 v244, v242
	v_mov_b32_e32 v245, v241
	v_pk_add_f32 v[230:231], v[244:245], v[230:231]
	v_pk_mul_f32 v[244:245], v[170:171], s[34:35] op_sel_hi:[1,0]
	v_mov_b32_e32 v73, v179
	v_pk_fma_f32 v[246:247], v[168:169], s[0:1], v[244:245] op_sel:[0,0,1] op_sel_hi:[1,0,0]
	v_pk_fma_f32 v[244:245], v[168:169], s[0:1], v[244:245] op_sel:[0,0,1] op_sel_hi:[1,0,0] neg_lo:[0,0,1] neg_hi:[0,0,1]
	v_mov_b32_e32 v248, v246
	v_mov_b32_e32 v249, v245
	v_pk_add_f32 v[230:231], v[248:249], v[230:231]
	v_pk_mul_f32 v[248:249], v[174:175], s[16:17] op_sel_hi:[1,0]
	v_mov_b32_e32 v233, v235
	v_pk_fma_f32 v[250:251], v[172:173], s[14:15], v[248:249] op_sel:[0,0,1] op_sel_hi:[1,0,0]
	v_pk_fma_f32 v[248:249], v[172:173], s[14:15], v[248:249] op_sel:[0,0,1] op_sel_hi:[1,0,0] neg_lo:[0,0,1] neg_hi:[0,0,1]
	v_mov_b32_e32 v252, v250
	v_mov_b32_e32 v253, v249
	v_pk_add_f32 v[230:231], v[252:253], v[230:231]
	ds_write2_b64 v192, v[204:205], v[230:231] offset0:4 offset1:5
	v_pk_fma_f32 v[204:205], v[74:75], s[24:25], v[76:77] op_sel:[0,0,1] op_sel_hi:[1,0,0]
	v_pk_fma_f32 v[74:75], v[74:75], s[24:25], v[76:77] op_sel:[0,0,1] op_sel_hi:[1,0,0] neg_lo:[0,0,1] neg_hi:[0,0,1]
	v_mov_b32_e32 v76, v204
	v_mov_b32_e32 v77, v75
	v_pk_fma_f32 v[230:231], v[80:81], s[0:1], v[86:87] op_sel:[0,0,1] op_sel_hi:[1,0,0]
	v_pk_fma_f32 v[80:81], v[80:81], s[0:1], v[86:87] op_sel:[0,0,1] op_sel_hi:[1,0,0] neg_lo:[0,0,1] neg_hi:[0,0,1]
	v_pk_add_f32 v[76:77], v[48:49], v[76:77]
	v_mov_b32_e32 v86, v230
	v_mov_b32_e32 v87, v81
	v_pk_add_f32 v[76:77], v[86:87], v[76:77]
	v_pk_mul_f32 v[86:87], v[162:163], s[20:21] op_sel_hi:[1,0]
	v_mov_b32_e32 v75, v205
	v_pk_fma_f32 v[162:163], v[160:161], s[18:19], v[86:87] op_sel:[0,0,1] op_sel_hi:[1,0,0]
	v_pk_fma_f32 v[86:87], v[160:161], s[18:19], v[86:87] op_sel:[0,0,1] op_sel_hi:[1,0,0] neg_lo:[0,0,1] neg_hi:[0,0,1]
	v_mov_b32_e32 v160, v162
	v_mov_b32_e32 v161, v87
	v_pk_add_f32 v[76:77], v[160:161], v[76:77]
	v_pk_mul_f32 v[160:161], v[166:167], s[38:39] op_sel_hi:[1,0]
	v_pk_add_f32 v[74:75], v[48:49], v[74:75]
	v_pk_fma_f32 v[166:167], v[164:165], s[8:9], v[160:161] op_sel:[0,0,1] op_sel_hi:[1,0,0]
	v_pk_fma_f32 v[160:161], v[164:165], s[8:9], v[160:161] op_sel:[0,0,1] op_sel_hi:[1,0,0] neg_lo:[0,0,1] neg_hi:[0,0,1]
	v_mov_b32_e32 v164, v166
	v_mov_b32_e32 v165, v161
	v_pk_add_f32 v[76:77], v[164:165], v[76:77]
	v_pk_mul_f32 v[164:165], v[170:171], s[16:17] op_sel_hi:[1,0]
	v_mov_b32_e32 v81, v231
	v_pk_fma_f32 v[170:171], v[168:169], s[14:15], v[164:165] op_sel:[0,0,1] op_sel_hi:[1,0,0]
	v_pk_fma_f32 v[164:165], v[168:169], s[14:15], v[164:165] op_sel:[0,0,1] op_sel_hi:[1,0,0] neg_lo:[0,0,1] neg_hi:[0,0,1]
	v_mov_b32_e32 v168, v170
	v_mov_b32_e32 v169, v165
	v_pk_add_f32 v[74:75], v[80:81], v[74:75]
	v_mov_b32_e32 v87, v163
	v_pk_add_f32 v[76:77], v[168:169], v[76:77]
	v_pk_mul_f32 v[168:169], v[174:175], s[28:29] op_sel_hi:[1,0]
	v_pk_add_f32 v[74:75], v[86:87], v[74:75]
	v_mov_b32_e32 v161, v167
	v_pk_fma_f32 v[174:175], v[172:173], s[12:13], v[168:169] op_sel:[0,0,1] op_sel_hi:[1,0,0]
	v_pk_fma_f32 v[168:169], v[172:173], s[12:13], v[168:169] op_sel:[0,0,1] op_sel_hi:[1,0,0] neg_lo:[0,0,1] neg_hi:[0,0,1]
	v_pk_add_f32 v[74:75], v[160:161], v[74:75]
	v_mov_b32_e32 v165, v171
	v_mov_b32_e32 v172, v174
	;; [unrolled: 1-line block ×3, first 2 shown]
	v_pk_add_f32 v[74:75], v[164:165], v[74:75]
	v_mov_b32_e32 v169, v175
	v_pk_add_f32 v[76:77], v[172:173], v[76:77]
	v_pk_add_f32 v[74:75], v[168:169], v[74:75]
	ds_write2_b64 v192, v[76:77], v[74:75] offset0:6 offset1:7
	v_pk_add_f32 v[74:75], v[48:49], v[226:227]
	v_pk_add_f32 v[72:73], v[48:49], v[72:73]
	v_mov_b32_e32 v207, v209
	v_pk_add_f32 v[74:75], v[232:233], v[74:75]
	v_mov_b32_e32 v237, v239
	;; [unrolled: 2-line block ×9, first 2 shown]
	v_pk_add_f32 v[74:75], v[248:249], v[74:75]
	v_pk_add_f32 v[72:73], v[222:223], v[72:73]
	v_mov_b32_e32 v79, v177
	v_mov_b32_e32 v133, v131
	;; [unrolled: 1-line block ×3, first 2 shown]
	ds_write2_b64 v192, v[74:75], v[72:73] offset0:8 offset1:9
	v_pk_add_f32 v[72:73], v[48:49], v[78:79]
	v_mov_b32_e32 v181, v183
	v_pk_add_f32 v[74:75], v[48:49], v[132:133]
	v_mov_b32_e32 v137, v135
	;; [unrolled: 2-line block ×15, first 2 shown]
	v_mov_b32_e32 v116, v102
	v_mov_b32_e32 v117, v102
	;; [unrolled: 1-line block ×18, first 2 shown]
	v_pk_add_f32 v[72:73], v[200:201], v[72:73]
	v_pk_add_f32 v[74:75], v[152:153], v[74:75]
	;; [unrolled: 1-line block ×3, first 2 shown]
	ds_write2_b64 v192, v[72:73], v[74:75] offset0:10 offset1:11
	ds_write_b64 v192, v[48:49] offset:96
	s_and_saveexec_b64 s[46:47], vcc
	s_cbranch_execz .LBB0_13
; %bb.12:
	v_pk_add_f32 v[48:49], v[26:27], v[24:25]
	v_pk_add_f32 v[74:75], v[26:27], v[114:115] neg_lo:[0,1] neg_hi:[0,1]
	v_pk_add_f32 v[48:49], v[0:1], v[48:49]
	v_pk_add_f32 v[72:73], v[114:115], v[26:27]
	;; [unrolled: 1-line block ×5, first 2 shown]
	v_pk_add_f32 v[86:87], v[2:3], v[4:5] neg_lo:[0,1] neg_hi:[0,1]
	v_pk_add_f32 v[48:49], v[10:11], v[48:49]
	v_pk_mul_f32 v[2:3], v[74:75], s[42:43] op_sel_hi:[1,0]
	v_pk_add_f32 v[48:49], v[16:17], v[48:49]
	v_pk_add_f32 v[76:77], v[6:7], v[0:1]
	;; [unrolled: 1-line block ×3, first 2 shown]
	v_pk_add_f32 v[78:79], v[0:1], v[6:7] neg_lo:[0,1] neg_hi:[0,1]
	v_pk_add_f32 v[48:49], v[12:13], v[48:49]
	v_pk_fma_f32 v[0:1], v[72:73], s[0:1], v[2:3] op_sel:[0,0,1] op_sel_hi:[1,0,0]
	v_pk_add_f32 v[48:49], v[14:15], v[48:49]
	v_pk_fma_f32 v[2:3], v[72:73], s[0:1], v[2:3] op_sel:[0,0,1] op_sel_hi:[1,0,0] neg_lo:[0,0,1] neg_hi:[0,0,1]
	v_pk_add_f32 v[48:49], v[4:5], v[48:49]
	v_mov_b32_e32 v4, v0
	v_pk_add_f32 v[48:49], v[6:7], v[48:49]
	v_mov_b32_e32 v5, v3
	v_pk_mul_f32 v[6:7], v[78:79], s[22:23] op_sel_hi:[1,0]
	v_pk_add_f32 v[130:131], v[14:15], v[8:9]
	v_pk_add_f32 v[132:133], v[8:9], v[14:15] neg_lo:[0,1] neg_hi:[0,1]
	v_pk_add_f32 v[8:9], v[24:25], v[4:5]
	v_pk_fma_f32 v[4:5], v[76:77], s[8:9], v[6:7] op_sel:[0,0,1] op_sel_hi:[1,0,0]
	v_pk_fma_f32 v[6:7], v[76:77], s[8:9], v[6:7] op_sel:[0,0,1] op_sel_hi:[1,0,0] neg_lo:[0,0,1] neg_hi:[0,0,1]
	v_pk_add_f32 v[134:135], v[12:13], v[10:11]
	v_pk_add_f32 v[136:137], v[10:11], v[12:13] neg_lo:[0,1] neg_hi:[0,1]
	v_mov_b32_e32 v10, v4
	v_mov_b32_e32 v11, v7
	v_pk_add_f32 v[12:13], v[10:11], v[8:9]
	v_pk_mul_f32 v[10:11], v[86:87], s[30:31] op_sel_hi:[1,0]
	v_pk_add_f32 v[128:129], v[18:19], v[16:17]
	v_pk_fma_f32 v[8:9], v[80:81], s[12:13], v[10:11] op_sel:[0,0,1] op_sel_hi:[1,0,0]
	v_pk_fma_f32 v[10:11], v[80:81], s[12:13], v[10:11] op_sel:[0,0,1] op_sel_hi:[1,0,0] neg_lo:[0,0,1] neg_hi:[0,0,1]
	v_mov_b32_e32 v14, v8
	v_mov_b32_e32 v15, v11
	v_pk_add_f32 v[138:139], v[16:17], v[18:19] neg_lo:[0,1] neg_hi:[0,1]
	v_pk_add_f32 v[16:17], v[14:15], v[12:13]
	v_pk_mul_f32 v[14:15], v[132:133], s[16:17] op_sel_hi:[1,0]
	v_pk_add_f32 v[50:51], v[114:115], v[48:49]
	v_pk_fma_f32 v[12:13], v[130:131], s[14:15], v[14:15] op_sel:[0,0,1] op_sel_hi:[1,0,0]
	v_pk_fma_f32 v[14:15], v[130:131], s[14:15], v[14:15] op_sel:[0,0,1] op_sel_hi:[1,0,0] neg_lo:[0,0,1] neg_hi:[0,0,1]
	v_mov_b32_e32 v18, v12
	v_mov_b32_e32 v19, v15
	v_pk_add_f32 v[26:27], v[18:19], v[16:17]
	v_pk_mul_f32 v[18:19], v[136:137], s[20:21] op_sel_hi:[1,0]
	v_pk_mul_f32 v[56:57], v[78:79], s[16:17] op_sel_hi:[1,0]
	v_pk_fma_f32 v[16:17], v[134:135], s[18:19], v[18:19] op_sel:[0,0,1] op_sel_hi:[1,0,0]
	v_pk_fma_f32 v[18:19], v[134:135], s[18:19], v[18:19] op_sel:[0,0,1] op_sel_hi:[1,0,0] neg_lo:[0,0,1] neg_hi:[0,0,1]
	v_mov_b32_e32 v48, v16
	v_mov_b32_e32 v49, v19
	v_pk_add_f32 v[52:53], v[48:49], v[26:27]
	v_pk_mul_f32 v[48:49], v[138:139], s[26:27] op_sel_hi:[1,0]
	v_pk_mul_f32 v[148:149], v[78:79], s[26:27] op_sel_hi:[1,0]
	v_pk_fma_f32 v[26:27], v[128:129], s[24:25], v[48:49] op_sel:[0,0,1] op_sel_hi:[1,0,0]
	v_pk_fma_f32 v[48:49], v[128:129], s[24:25], v[48:49] op_sel:[0,0,1] op_sel_hi:[1,0,0] neg_lo:[0,0,1] neg_hi:[0,0,1]
	v_mov_b32_e32 v54, v26
	v_mov_b32_e32 v55, v49
	v_pk_add_f32 v[52:53], v[54:55], v[52:53]
	ds_write2_b64 v85, v[50:51], v[52:53] offset0:169 offset1:170
	v_pk_mul_f32 v[52:53], v[74:75], s[22:23] op_sel_hi:[1,0]
	v_pk_fma_f32 v[150:151], v[76:77], s[24:25], v[148:149] op_sel:[0,0,1] op_sel_hi:[1,0,0]
	v_pk_fma_f32 v[50:51], v[72:73], s[8:9], v[52:53] op_sel:[0,0,1] op_sel_hi:[1,0,0]
	v_pk_fma_f32 v[52:53], v[72:73], s[8:9], v[52:53] op_sel:[0,0,1] op_sel_hi:[1,0,0] neg_lo:[0,0,1] neg_hi:[0,0,1]
	v_mov_b32_e32 v54, v50
	v_mov_b32_e32 v55, v53
	v_pk_add_f32 v[58:59], v[24:25], v[54:55]
	v_pk_fma_f32 v[54:55], v[76:77], s[14:15], v[56:57] op_sel:[0,0,1] op_sel_hi:[1,0,0]
	v_pk_fma_f32 v[56:57], v[76:77], s[14:15], v[56:57] op_sel:[0,0,1] op_sel_hi:[1,0,0] neg_lo:[0,0,1] neg_hi:[0,0,1]
	v_mov_b32_e32 v60, v54
	v_mov_b32_e32 v61, v57
	v_pk_add_f32 v[62:63], v[60:61], v[58:59]
	v_pk_mul_f32 v[60:61], v[86:87], s[26:27] op_sel_hi:[1,0]
	v_pk_fma_f32 v[148:149], v[76:77], s[24:25], v[148:149] op_sel:[0,0,1] op_sel_hi:[1,0,0] neg_lo:[0,0,1] neg_hi:[0,0,1]
	v_pk_fma_f32 v[58:59], v[80:81], s[24:25], v[60:61] op_sel:[0,0,1] op_sel_hi:[1,0,0]
	v_pk_fma_f32 v[60:61], v[80:81], s[24:25], v[60:61] op_sel:[0,0,1] op_sel_hi:[1,0,0] neg_lo:[0,0,1] neg_hi:[0,0,1]
	v_mov_b32_e32 v64, v58
	v_mov_b32_e32 v65, v61
	v_pk_add_f32 v[66:67], v[64:65], v[62:63]
	v_pk_mul_f32 v[64:65], v[132:133], s[36:37] op_sel_hi:[1,0]
	v_mov_b32_e32 v152, v150
	v_pk_fma_f32 v[62:63], v[130:131], s[18:19], v[64:65] op_sel:[0,0,1] op_sel_hi:[1,0,0]
	v_pk_fma_f32 v[64:65], v[130:131], s[18:19], v[64:65] op_sel:[0,0,1] op_sel_hi:[1,0,0] neg_lo:[0,0,1] neg_hi:[0,0,1]
	v_mov_b32_e32 v68, v62
	v_mov_b32_e32 v69, v65
	v_pk_add_f32 v[70:71], v[68:69], v[66:67]
	v_pk_mul_f32 v[68:69], v[136:137], s[28:29] op_sel_hi:[1,0]
	v_mov_b32_e32 v153, v149
	v_pk_fma_f32 v[66:67], v[134:135], s[12:13], v[68:69] op_sel:[0,0,1] op_sel_hi:[1,0,0]
	v_pk_fma_f32 v[68:69], v[134:135], s[12:13], v[68:69] op_sel:[0,0,1] op_sel_hi:[1,0,0] neg_lo:[0,0,1] neg_hi:[0,0,1]
	v_mov_b32_e32 v114, v66
	v_mov_b32_e32 v115, v69
	v_pk_add_f32 v[140:141], v[114:115], v[70:71]
	v_pk_mul_f32 v[114:115], v[138:139], s[34:35] op_sel_hi:[1,0]
	v_pk_mul_f32 v[176:177], v[78:79], s[36:37] op_sel_hi:[1,0]
	v_pk_fma_f32 v[70:71], v[128:129], s[0:1], v[114:115] op_sel:[0,0,1] op_sel_hi:[1,0,0]
	v_pk_fma_f32 v[114:115], v[128:129], s[0:1], v[114:115] op_sel:[0,0,1] op_sel_hi:[1,0,0] neg_lo:[0,0,1] neg_hi:[0,0,1]
	v_mov_b32_e32 v142, v70
	v_mov_b32_e32 v143, v115
	v_pk_add_f32 v[140:141], v[142:143], v[140:141]
	v_pk_mul_f32 v[142:143], v[74:75], s[30:31] op_sel_hi:[1,0]
	v_pk_fma_f32 v[178:179], v[76:77], s[18:19], v[176:177] op_sel:[0,0,1] op_sel_hi:[1,0,0]
	v_pk_fma_f32 v[144:145], v[72:73], s[12:13], v[142:143] op_sel:[0,0,1] op_sel_hi:[1,0,0]
	v_pk_fma_f32 v[142:143], v[72:73], s[12:13], v[142:143] op_sel:[0,0,1] op_sel_hi:[1,0,0] neg_lo:[0,0,1] neg_hi:[0,0,1]
	v_mov_b32_e32 v146, v144
	v_mov_b32_e32 v147, v143
	v_pk_add_f32 v[146:147], v[24:25], v[146:147]
	v_pk_fma_f32 v[176:177], v[76:77], s[18:19], v[176:177] op_sel:[0,0,1] op_sel_hi:[1,0,0] neg_lo:[0,0,1] neg_hi:[0,0,1]
	v_pk_add_f32 v[146:147], v[152:153], v[146:147]
	v_pk_mul_f32 v[152:153], v[86:87], s[44:45] op_sel_hi:[1,0]
	v_mov_b32_e32 v180, v178
	v_pk_fma_f32 v[160:161], v[80:81], s[14:15], v[152:153] op_sel:[0,0,1] op_sel_hi:[1,0,0]
	v_pk_fma_f32 v[152:153], v[80:81], s[14:15], v[152:153] op_sel:[0,0,1] op_sel_hi:[1,0,0] neg_lo:[0,0,1] neg_hi:[0,0,1]
	v_mov_b32_e32 v162, v160
	v_mov_b32_e32 v163, v153
	v_pk_add_f32 v[146:147], v[162:163], v[146:147]
	v_pk_mul_f32 v[162:163], v[132:133], s[34:35] op_sel_hi:[1,0]
	v_mov_b32_e32 v181, v177
	v_pk_fma_f32 v[164:165], v[130:131], s[0:1], v[162:163] op_sel:[0,0,1] op_sel_hi:[1,0,0]
	v_pk_fma_f32 v[162:163], v[130:131], s[0:1], v[162:163] op_sel:[0,0,1] op_sel_hi:[1,0,0] neg_lo:[0,0,1] neg_hi:[0,0,1]
	v_mov_b32_e32 v166, v164
	v_mov_b32_e32 v167, v163
	v_pk_add_f32 v[146:147], v[166:167], v[146:147]
	v_pk_mul_f32 v[166:167], v[136:137], s[22:23] op_sel_hi:[1,0]
	v_pk_mul_f32 v[206:207], v[78:79], s[28:29] op_sel_hi:[1,0]
	v_pk_fma_f32 v[168:169], v[134:135], s[8:9], v[166:167] op_sel:[0,0,1] op_sel_hi:[1,0,0]
	v_pk_fma_f32 v[166:167], v[134:135], s[8:9], v[166:167] op_sel:[0,0,1] op_sel_hi:[1,0,0] neg_lo:[0,0,1] neg_hi:[0,0,1]
	v_mov_b32_e32 v170, v168
	v_mov_b32_e32 v171, v167
	v_pk_add_f32 v[146:147], v[170:171], v[146:147]
	v_pk_mul_f32 v[170:171], v[138:139], s[20:21] op_sel_hi:[1,0]
	v_pk_fma_f32 v[208:209], v[76:77], s[12:13], v[206:207] op_sel:[0,0,1] op_sel_hi:[1,0,0]
	v_pk_fma_f32 v[172:173], v[128:129], s[18:19], v[170:171] op_sel:[0,0,1] op_sel_hi:[1,0,0]
	v_pk_fma_f32 v[170:171], v[128:129], s[18:19], v[170:171] op_sel:[0,0,1] op_sel_hi:[1,0,0] neg_lo:[0,0,1] neg_hi:[0,0,1]
	v_mov_b32_e32 v174, v172
	v_mov_b32_e32 v175, v171
	v_pk_add_f32 v[146:147], v[174:175], v[146:147]
	ds_write2_b64 v85, v[140:141], v[146:147] offset0:171 offset1:172
	v_pk_mul_f32 v[140:141], v[74:75], s[16:17] op_sel_hi:[1,0]
	v_pk_fma_f32 v[206:207], v[76:77], s[12:13], v[206:207] op_sel:[0,0,1] op_sel_hi:[1,0,0] neg_lo:[0,0,1] neg_hi:[0,0,1]
	v_pk_fma_f32 v[146:147], v[72:73], s[14:15], v[140:141] op_sel:[0,0,1] op_sel_hi:[1,0,0]
	v_pk_fma_f32 v[140:141], v[72:73], s[14:15], v[140:141] op_sel:[0,0,1] op_sel_hi:[1,0,0] neg_lo:[0,0,1] neg_hi:[0,0,1]
	v_mov_b32_e32 v174, v146
	v_mov_b32_e32 v175, v141
	v_pk_add_f32 v[174:175], v[24:25], v[174:175]
	v_mov_b32_e32 v210, v208
	v_pk_add_f32 v[174:175], v[180:181], v[174:175]
	v_pk_mul_f32 v[180:181], v[86:87], s[34:35] op_sel_hi:[1,0]
	v_mov_b32_e32 v211, v207
	v_pk_fma_f32 v[182:183], v[80:81], s[0:1], v[180:181] op_sel:[0,0,1] op_sel_hi:[1,0,0]
	v_pk_fma_f32 v[180:181], v[80:81], s[0:1], v[180:181] op_sel:[0,0,1] op_sel_hi:[1,0,0] neg_lo:[0,0,1] neg_hi:[0,0,1]
	v_mov_b32_e32 v184, v182
	v_mov_b32_e32 v185, v181
	v_pk_add_f32 v[174:175], v[184:185], v[174:175]
	v_pk_mul_f32 v[184:185], v[132:133], s[30:31] op_sel_hi:[1,0]
	v_pk_mul_f32 v[78:79], v[78:79], s[34:35] op_sel_hi:[1,0]
	v_pk_fma_f32 v[186:187], v[130:131], s[12:13], v[184:185] op_sel:[0,0,1] op_sel_hi:[1,0,0]
	v_pk_fma_f32 v[184:185], v[130:131], s[12:13], v[184:185] op_sel:[0,0,1] op_sel_hi:[1,0,0] neg_lo:[0,0,1] neg_hi:[0,0,1]
	v_mov_b32_e32 v188, v186
	v_mov_b32_e32 v189, v185
	v_pk_add_f32 v[174:175], v[188:189], v[174:175]
	v_pk_mul_f32 v[188:189], v[136:137], s[40:41] op_sel_hi:[1,0]
	v_mov_b32_e32 v141, v147
	v_pk_fma_f32 v[194:195], v[134:135], s[24:25], v[188:189] op_sel:[0,0,1] op_sel_hi:[1,0,0]
	v_pk_fma_f32 v[188:189], v[134:135], s[24:25], v[188:189] op_sel:[0,0,1] op_sel_hi:[1,0,0] neg_lo:[0,0,1] neg_hi:[0,0,1]
	v_mov_b32_e32 v196, v194
	v_mov_b32_e32 v197, v189
	v_pk_add_f32 v[174:175], v[196:197], v[174:175]
	v_pk_mul_f32 v[196:197], v[138:139], s[38:39] op_sel_hi:[1,0]
	v_mov_b32_e32 v207, v209
	v_pk_fma_f32 v[198:199], v[128:129], s[8:9], v[196:197] op_sel:[0,0,1] op_sel_hi:[1,0,0]
	v_pk_fma_f32 v[196:197], v[128:129], s[8:9], v[196:197] op_sel:[0,0,1] op_sel_hi:[1,0,0] neg_lo:[0,0,1] neg_hi:[0,0,1]
	v_mov_b32_e32 v200, v198
	v_mov_b32_e32 v201, v197
	v_pk_add_f32 v[174:175], v[200:201], v[174:175]
	v_pk_mul_f32 v[200:201], v[74:75], s[20:21] op_sel_hi:[1,0]
	v_pk_mul_f32 v[74:75], v[74:75], s[26:27] op_sel_hi:[1,0]
	v_pk_fma_f32 v[202:203], v[72:73], s[18:19], v[200:201] op_sel:[0,0,1] op_sel_hi:[1,0,0]
	v_pk_fma_f32 v[200:201], v[72:73], s[18:19], v[200:201] op_sel:[0,0,1] op_sel_hi:[1,0,0] neg_lo:[0,0,1] neg_hi:[0,0,1]
	v_mov_b32_e32 v204, v202
	v_mov_b32_e32 v205, v201
	v_pk_add_f32 v[204:205], v[24:25], v[204:205]
	v_mov_b32_e32 v201, v203
	v_pk_add_f32 v[204:205], v[210:211], v[204:205]
	v_pk_mul_f32 v[210:211], v[86:87], s[22:23] op_sel_hi:[1,0]
	v_mov_b32_e32 v177, v179
	v_pk_fma_f32 v[212:213], v[80:81], s[8:9], v[210:211] op_sel:[0,0,1] op_sel_hi:[1,0,0]
	v_pk_fma_f32 v[210:211], v[80:81], s[8:9], v[210:211] op_sel:[0,0,1] op_sel_hi:[1,0,0] neg_lo:[0,0,1] neg_hi:[0,0,1]
	v_mov_b32_e32 v214, v212
	v_mov_b32_e32 v215, v211
	v_pk_add_f32 v[204:205], v[214:215], v[204:205]
	v_pk_mul_f32 v[214:215], v[132:133], s[40:41] op_sel_hi:[1,0]
	v_mov_b32_e32 v211, v213
	v_pk_fma_f32 v[216:217], v[130:131], s[24:25], v[214:215] op_sel:[0,0,1] op_sel_hi:[1,0,0]
	v_pk_fma_f32 v[214:215], v[130:131], s[24:25], v[214:215] op_sel:[0,0,1] op_sel_hi:[1,0,0] neg_lo:[0,0,1] neg_hi:[0,0,1]
	v_mov_b32_e32 v218, v216
	;; [unrolled: 7-line block ×4, first 2 shown]
	v_mov_b32_e32 v227, v223
	v_pk_add_f32 v[204:205], v[226:227], v[204:205]
	ds_write2_b64 v85, v[174:175], v[204:205] offset0:173 offset1:174
	v_pk_fma_f32 v[174:175], v[72:73], s[24:25], v[74:75] op_sel:[0,0,1] op_sel_hi:[1,0,0]
	v_pk_fma_f32 v[72:73], v[72:73], s[24:25], v[74:75] op_sel:[0,0,1] op_sel_hi:[1,0,0] neg_lo:[0,0,1] neg_hi:[0,0,1]
	v_mov_b32_e32 v74, v174
	v_mov_b32_e32 v75, v73
	v_pk_fma_f32 v[204:205], v[76:77], s[0:1], v[78:79] op_sel:[0,0,1] op_sel_hi:[1,0,0]
	v_pk_fma_f32 v[76:77], v[76:77], s[0:1], v[78:79] op_sel:[0,0,1] op_sel_hi:[1,0,0] neg_lo:[0,0,1] neg_hi:[0,0,1]
	v_pk_add_f32 v[74:75], v[24:25], v[74:75]
	v_mov_b32_e32 v78, v204
	v_mov_b32_e32 v79, v77
	v_pk_add_f32 v[74:75], v[78:79], v[74:75]
	v_pk_mul_f32 v[78:79], v[86:87], s[20:21] op_sel_hi:[1,0]
	v_mov_b32_e32 v73, v175
	v_pk_fma_f32 v[86:87], v[80:81], s[18:19], v[78:79] op_sel:[0,0,1] op_sel_hi:[1,0,0]
	v_pk_fma_f32 v[78:79], v[80:81], s[18:19], v[78:79] op_sel:[0,0,1] op_sel_hi:[1,0,0] neg_lo:[0,0,1] neg_hi:[0,0,1]
	v_mov_b32_e32 v80, v86
	v_mov_b32_e32 v81, v79
	v_pk_add_f32 v[74:75], v[80:81], v[74:75]
	v_pk_mul_f32 v[80:81], v[132:133], s[38:39] op_sel_hi:[1,0]
	v_pk_add_f32 v[72:73], v[24:25], v[72:73]
	v_pk_fma_f32 v[132:133], v[130:131], s[8:9], v[80:81] op_sel:[0,0,1] op_sel_hi:[1,0,0]
	v_pk_fma_f32 v[80:81], v[130:131], s[8:9], v[80:81] op_sel:[0,0,1] op_sel_hi:[1,0,0] neg_lo:[0,0,1] neg_hi:[0,0,1]
	v_mov_b32_e32 v130, v132
	v_mov_b32_e32 v131, v81
	v_pk_add_f32 v[74:75], v[130:131], v[74:75]
	v_pk_mul_f32 v[130:131], v[136:137], s[16:17] op_sel_hi:[1,0]
	v_mov_b32_e32 v77, v205
	v_pk_fma_f32 v[136:137], v[134:135], s[14:15], v[130:131] op_sel:[0,0,1] op_sel_hi:[1,0,0]
	v_pk_fma_f32 v[130:131], v[134:135], s[14:15], v[130:131] op_sel:[0,0,1] op_sel_hi:[1,0,0] neg_lo:[0,0,1] neg_hi:[0,0,1]
	v_mov_b32_e32 v134, v136
	v_mov_b32_e32 v135, v131
	v_pk_add_f32 v[72:73], v[76:77], v[72:73]
	v_mov_b32_e32 v79, v87
	v_pk_add_f32 v[74:75], v[134:135], v[74:75]
	v_pk_mul_f32 v[134:135], v[138:139], s[28:29] op_sel_hi:[1,0]
	v_pk_add_f32 v[72:73], v[78:79], v[72:73]
	v_mov_b32_e32 v81, v133
	v_pk_fma_f32 v[138:139], v[128:129], s[12:13], v[134:135] op_sel:[0,0,1] op_sel_hi:[1,0,0]
	v_pk_fma_f32 v[128:129], v[128:129], s[12:13], v[134:135] op_sel:[0,0,1] op_sel_hi:[1,0,0] neg_lo:[0,0,1] neg_hi:[0,0,1]
	v_pk_add_f32 v[72:73], v[80:81], v[72:73]
	v_mov_b32_e32 v131, v137
	v_mov_b32_e32 v134, v138
	;; [unrolled: 1-line block ×3, first 2 shown]
	v_pk_add_f32 v[72:73], v[130:131], v[72:73]
	v_mov_b32_e32 v129, v139
	v_pk_add_f32 v[74:75], v[134:135], v[74:75]
	v_pk_add_f32 v[72:73], v[128:129], v[72:73]
	ds_write2_b64 v85, v[74:75], v[72:73] offset0:175 offset1:176
	v_pk_add_f32 v[72:73], v[24:25], v[200:201]
	v_pk_add_f32 v[74:75], v[24:25], v[140:141]
	;; [unrolled: 1-line block ×6, first 2 shown]
	v_mov_b32_e32 v185, v187
	v_pk_add_f32 v[72:73], v[214:215], v[72:73]
	v_mov_b32_e32 v219, v221
	v_pk_add_f32 v[74:75], v[184:185], v[74:75]
	;; [unrolled: 2-line block ×5, first 2 shown]
	v_pk_add_f32 v[74:75], v[196:197], v[74:75]
	v_mov_b32_e32 v143, v145
	v_mov_b32_e32 v53, v51
	;; [unrolled: 1-line block ×3, first 2 shown]
	ds_write2_b64 v85, v[72:73], v[74:75] offset0:177 offset1:178
	v_pk_add_f32 v[72:73], v[24:25], v[142:143]
	v_mov_b32_e32 v149, v151
	v_pk_add_f32 v[50:51], v[24:25], v[52:53]
	v_mov_b32_e32 v57, v55
	;; [unrolled: 2-line block ×15, first 2 shown]
	v_pk_add_f32 v[72:73], v[170:171], v[72:73]
	v_pk_add_f32 v[50:51], v[114:115], v[50:51]
	;; [unrolled: 1-line block ×3, first 2 shown]
	ds_write2_b64 v85, v[72:73], v[50:51] offset0:179 offset1:180
	ds_write_b64 v85, v[0:1] offset:1448
.LBB0_13:
	s_or_b64 exec, exec, s[46:47]
	s_waitcnt lgkmcnt(0)
	; wave barrier
	s_waitcnt lgkmcnt(0)
	ds_read2_b64 v[4:7], v190 offset0:78 offset1:91
	ds_read2_b64 v[8:11], v190 offset1:13
	ds_read2_b64 v[12:15], v190 offset0:156 offset1:169
	v_mov_b32_e32 v0, s10
	v_mov_b32_e32 v1, s11
	s_waitcnt lgkmcnt(2)
	v_pk_mul_f32 v[16:17], v[102:103], v[6:7]
	s_mov_b32 s10, 0x3f08b237
	v_pk_fma_f32 v[18:19], v[116:117], v[6:7], v[16:17] op_sel:[0,0,1] op_sel_hi:[1,1,0]
	v_pk_fma_f32 v[6:7], v[116:117], v[6:7], v[16:17] op_sel:[0,0,1] op_sel_hi:[1,1,0] neg_lo:[0,0,1] neg_hi:[0,0,1]
	s_mov_b32 s16, 0x3d64c772
	v_mov_b32_e32 v19, v7
	s_waitcnt lgkmcnt(1)
	v_pk_add_f32 v[48:49], v[8:9], v[18:19] neg_lo:[0,1] neg_hi:[0,1]
	s_waitcnt lgkmcnt(0)
	v_pk_mul_f32 v[6:7], v[112:113], v[14:15]
	v_pk_fma_f32 v[50:51], v[8:9], 2.0, v[48:49] op_sel_hi:[1,0,1] neg_lo:[0,0,1] neg_hi:[0,0,1]
	v_pk_fma_f32 v[8:9], v[126:127], v[14:15], v[6:7] op_sel:[0,0,1] op_sel_hi:[1,1,0]
	v_pk_fma_f32 v[6:7], v[126:127], v[14:15], v[6:7] op_sel:[0,0,1] op_sel_hi:[1,1,0] neg_lo:[0,0,1] neg_hi:[0,0,1]
	ds_read2_b64 v[14:17], v190 offset0:130 offset1:143
	v_mov_b32_e32 v9, v7
	v_pk_add_f32 v[52:53], v[4:5], v[8:9] neg_lo:[0,1] neg_hi:[0,1]
	ds_read2_b64 v[6:9], v190 offset0:52 offset1:65
	v_pk_mul_f32 v[18:19], v[110:111], v[12:13]
	s_waitcnt lgkmcnt(1)
	v_pk_mul_f32 v[56:57], v[106:107], v[14:15]
	v_pk_fma_f32 v[24:25], v[124:125], v[12:13], v[18:19] op_sel:[0,0,1] op_sel_hi:[1,1,0]
	v_pk_fma_f32 v[12:13], v[124:125], v[12:13], v[18:19] op_sel:[0,0,1] op_sel_hi:[1,1,0] neg_lo:[0,0,1] neg_hi:[0,0,1]
	v_pk_mul_f32 v[18:19], v[108:109], v[16:17]
	v_mov_b32_e32 v25, v13
	s_waitcnt lgkmcnt(0)
	v_pk_add_f32 v[12:13], v[8:9], v[24:25] neg_lo:[0,1] neg_hi:[0,1]
	v_pk_fma_f32 v[24:25], v[122:123], v[16:17], v[18:19] op_sel:[0,0,1] op_sel_hi:[1,1,0]
	v_pk_fma_f32 v[16:17], v[122:123], v[16:17], v[18:19] op_sel:[0,0,1] op_sel_hi:[1,1,0] neg_lo:[0,0,1] neg_hi:[0,0,1]
	v_pk_fma_f32 v[58:59], v[120:121], v[14:15], v[56:57] op_sel:[0,0,1] op_sel_hi:[1,1,0]
	v_mov_b32_e32 v25, v17
	v_pk_add_f32 v[54:55], v[6:7], v[24:25] neg_lo:[0,1] neg_hi:[0,1]
	ds_read2_b64 v[24:27], v190 offset0:104 offset1:117
	ds_read2_b64 v[16:19], v190 offset0:26 offset1:39
	v_pk_fma_f32 v[14:15], v[120:121], v[14:15], v[56:57] op_sel:[0,0,1] op_sel_hi:[1,1,0] neg_lo:[0,0,1] neg_hi:[0,0,1]
	s_waitcnt lgkmcnt(0)
	v_mov_b32_e32 v59, v15
	v_pk_mul_f32 v[56:57], v[104:105], v[26:27]
	v_pk_add_f32 v[14:15], v[18:19], v[58:59] neg_lo:[0,1] neg_hi:[0,1]
	v_pk_fma_f32 v[58:59], v[118:119], v[26:27], v[56:57] op_sel:[0,0,1] op_sel_hi:[1,1,0]
	v_pk_fma_f32 v[26:27], v[118:119], v[26:27], v[56:57] op_sel:[0,0,1] op_sel_hi:[1,1,0] neg_lo:[0,0,1] neg_hi:[0,0,1]
	v_pk_mul_f32 v[56:57], v[102:103], v[24:25]
	v_mov_b32_e32 v59, v27
	v_pk_add_f32 v[26:27], v[16:17], v[58:59] neg_lo:[0,1] neg_hi:[0,1]
	v_pk_fma_f32 v[58:59], v[116:117], v[24:25], v[56:57] op_sel:[0,0,1] op_sel_hi:[1,1,0]
	v_pk_fma_f32 v[24:25], v[116:117], v[24:25], v[56:57] op_sel:[0,0,1] op_sel_hi:[1,1,0] neg_lo:[0,0,1] neg_hi:[0,0,1]
	; wave barrier
	s_nop 0
	v_mov_b32_e32 v59, v25
	v_pk_add_f32 v[24:25], v[10:11], v[58:59] neg_lo:[0,1] neg_hi:[0,1]
	v_pk_fma_f32 v[6:7], v[6:7], 2.0, v[54:55] op_sel_hi:[1,0,1] neg_lo:[0,0,1] neg_hi:[0,0,1]
	v_pk_fma_f32 v[10:11], v[10:11], 2.0, v[24:25] op_sel_hi:[1,0,1] neg_lo:[0,0,1] neg_hi:[0,0,1]
	ds_write2_b64 v190, v[10:11], v[24:25] offset0:26 offset1:39
	v_pk_fma_f32 v[10:11], v[16:17], 2.0, v[26:27] op_sel_hi:[1,0,1] neg_lo:[0,0,1] neg_hi:[0,0,1]
	ds_write2_b64 v190, v[50:51], v[48:49] offset1:13
	ds_write2_b64 v158, v[10:11], v[26:27] offset0:52 offset1:65
	v_pk_fma_f32 v[10:11], v[18:19], 2.0, v[14:15] op_sel_hi:[1,0,1] neg_lo:[0,0,1] neg_hi:[0,0,1]
	ds_write2_b64 v156, v[6:7], v[54:55] offset0:104 offset1:117
	v_pk_fma_f32 v[6:7], v[8:9], 2.0, v[12:13] op_sel_hi:[1,0,1] neg_lo:[0,0,1] neg_hi:[0,0,1]
	v_pk_fma_f32 v[4:5], v[4:5], 2.0, v[52:53] op_sel_hi:[1,0,1] neg_lo:[0,0,1] neg_hi:[0,0,1]
	ds_write2_b64 v157, v[10:11], v[14:15] offset0:78 offset1:91
	ds_write2_b64 v155, v[6:7], v[12:13] offset0:130 offset1:143
	;; [unrolled: 1-line block ×3, first 2 shown]
	s_waitcnt lgkmcnt(0)
	; wave barrier
	s_waitcnt lgkmcnt(0)
	ds_read2_b64 v[4:7], v190 offset0:78 offset1:91
	ds_read2_b64 v[8:11], v190 offset0:26 offset1:39
	;; [unrolled: 1-line block ×6, first 2 shown]
	s_waitcnt lgkmcnt(5)
	v_pk_mul_f32 v[56:57], v[40:41], v[4:5] op_sel:[0,1] op_sel_hi:[1,0]
	v_mov_b32_e32 v54, v41
	v_mov_b32_e32 v56, v57
	v_pk_mul_f32 v[52:53], v[40:41], v[4:5]
	v_pk_mul_f32 v[54:55], v[54:55], v[4:5] op_sel:[0,1] op_sel_hi:[1,0]
	v_pk_fma_f32 v[40:41], v[40:41], v[4:5], v[56:57] op_sel:[0,1,0] op_sel_hi:[1,0,1] neg_lo:[0,0,1] neg_hi:[0,0,1]
	v_mov_b32_e32 v4, v43
	s_waitcnt lgkmcnt(0)
	v_pk_mul_f32 v[58:59], v[4:5], v[48:49] op_sel:[0,1] op_sel_hi:[1,0]
	v_pk_mul_f32 v[4:5], v[42:43], v[48:49] op_sel:[0,1] op_sel_hi:[1,0]
	v_pk_mul_f32 v[56:57], v[42:43], v[48:49]
	v_mov_b32_e32 v4, v5
	v_pk_fma_f32 v[42:43], v[42:43], v[48:49], v[4:5] op_sel:[0,1,0] op_sel_hi:[1,0,1] neg_lo:[0,0,1] neg_hi:[0,0,1]
	v_mov_b32_e32 v4, v45
	v_pk_mul_f32 v[60:61], v[4:5], v[6:7] op_sel:[0,1] op_sel_hi:[1,0]
	v_pk_mul_f32 v[4:5], v[44:45], v[6:7] op_sel:[0,1] op_sel_hi:[1,0]
	v_pk_mul_f32 v[48:49], v[44:45], v[6:7]
	v_mov_b32_e32 v4, v5
	v_pk_fma_f32 v[44:45], v[44:45], v[6:7], v[4:5] op_sel:[0,1,0] op_sel_hi:[1,0,1] neg_lo:[0,0,1] neg_hi:[0,0,1]
	v_mov_b32_e32 v4, v47
	v_pk_mul_f32 v[64:65], v[4:5], v[50:51] op_sel:[0,1] op_sel_hi:[1,0]
	v_pk_mul_f32 v[4:5], v[46:47], v[50:51] op_sel:[0,1] op_sel_hi:[1,0]
	v_pk_mul_f32 v[66:67], v[36:37], v[8:9] op_sel_hi:[1,0]
	v_mov_b32_e32 v4, v5
	v_pk_mul_f32 v[62:63], v[46:47], v[50:51]
	v_pk_fma_f32 v[46:47], v[46:47], v[50:51], v[4:5] op_sel:[0,1,0] op_sel_hi:[1,0,1] neg_lo:[0,0,1] neg_hi:[0,0,1]
	v_mov_b32_e32 v50, v9
	v_pk_fma_f32 v[8:9], v[36:37], v[8:9], v[66:67] op_sel:[0,1,1] op_sel_hi:[1,1,0]
	v_pk_fma_f32 v[50:51], v[36:37], v[50:51], v[66:67] op_sel:[0,0,1] op_sel_hi:[1,1,0] neg_lo:[0,0,1] neg_hi:[0,0,1]
	v_mov_b32_e32 v8, v13
	v_pk_mul_f32 v[36:37], v[38:39], v[12:13] op_sel_hi:[1,0]
	v_mov_b32_e32 v51, v9
	v_pk_fma_f32 v[8:9], v[38:39], v[8:9], v[36:37] op_sel:[0,0,1] op_sel_hi:[1,1,0] neg_lo:[0,0,1] neg_hi:[0,0,1]
	v_pk_fma_f32 v[12:13], v[38:39], v[12:13], v[36:37] op_sel:[0,1,1] op_sel_hi:[1,1,0]
	v_pk_mul_f32 v[36:37], v[32:33], v[16:17] op_sel_hi:[1,0]
	v_mov_b32_e32 v12, v17
	v_pk_fma_f32 v[16:17], v[32:33], v[16:17], v[36:37] op_sel:[0,1,1] op_sel_hi:[1,1,0]
	v_mov_b32_e32 v9, v13
	v_pk_fma_f32 v[12:13], v[32:33], v[12:13], v[36:37] op_sel:[0,0,1] op_sel_hi:[1,1,0] neg_lo:[0,0,1] neg_hi:[0,0,1]
	v_mov_b32_e32 v16, v25
	v_pk_mul_f32 v[32:33], v[34:35], v[24:25] op_sel_hi:[1,0]
	v_mov_b32_e32 v13, v17
	v_pk_fma_f32 v[16:17], v[34:35], v[16:17], v[32:33] op_sel:[0,0,1] op_sel_hi:[1,1,0] neg_lo:[0,0,1] neg_hi:[0,0,1]
	v_pk_fma_f32 v[24:25], v[34:35], v[24:25], v[32:33] op_sel:[0,1,1] op_sel_hi:[1,1,0]
	v_mov_b32_e32 v57, v50
	v_mov_b32_e32 v17, v25
	;; [unrolled: 1-line block ×5, first 2 shown]
	v_pk_add_f32 v[24:25], v[50:51], v[16:17]
	v_pk_add_f32 v[32:33], v[50:51], v[16:17] neg_lo:[0,1] neg_hi:[0,1]
	v_pk_add_f32 v[34:35], v[8:9], v[12:13]
	v_pk_add_f32 v[36:37], v[8:9], v[12:13] neg_lo:[0,1] neg_hi:[0,1]
	v_pk_add_f32 v[16:17], v[56:57], v[58:59]
	v_pk_add_f32 v[8:9], v[52:53], v[54:55]
	v_mov_b32_e32 v43, v16
	v_mov_b32_e32 v41, v8
	ds_read2_b64 v[4:7], v190 offset1:13
	v_pk_add_f32 v[12:13], v[42:43], v[40:41] neg_lo:[0,1] neg_hi:[0,1]
	v_mov_b32_e32 v54, v35
	v_mov_b32_e32 v55, v40
	;; [unrolled: 1-line block ×8, first 2 shown]
	v_pk_add_f32 v[40:41], v[54:55], v[40:41]
	v_pk_add_f32 v[42:43], v[8:9], v[16:17]
	v_pk_add_f32 v[38:39], v[38:39], v[50:51] neg_lo:[0,1] neg_hi:[0,1]
	s_mov_b32 s11, 0xbeae86e6
	v_mov_b32_e32 v50, v32
	v_mov_b32_e32 v52, v12
	;; [unrolled: 1-line block ×8, first 2 shown]
	s_mov_b32 s17, 0x3f4a47b2
	v_pk_add_f32 v[50:51], v[50:51], v[52:53] neg_lo:[0,1] neg_hi:[0,1]
	s_mov_b32 s8, s11
	s_mov_b32 s9, s10
	v_pk_add_f32 v[54:55], v[16:17], v[54:55] neg_lo:[0,1] neg_hi:[0,1]
	v_pk_add_f32 v[56:57], v[56:57], v[8:9] neg_lo:[0,1] neg_hi:[0,1]
	s_mov_b32 s18, s17
	s_mov_b32 s19, s16
	v_pk_mul_f32 v[38:39], v[38:39], s[10:11]
	v_pk_mul_f32 v[52:53], v[50:51], s[8:9]
	v_pk_add_f32 v[12:13], v[12:13], v[36:37]
	v_pk_add_f32 v[40:41], v[40:41], v[42:43]
	v_pk_mul_f32 v[42:43], v[54:55], s[16:17]
	v_pk_mul_f32 v[54:55], v[56:57], s[18:19]
	v_mov_b32_e32 v8, v35
	v_mov_b32_e32 v16, v25
	v_mad_u64_u32 v[2:3], s[0:1], s6, v84, 0
	v_pk_add_f32 v[12:13], v[12:13], v[32:33]
	s_waitcnt lgkmcnt(0)
	v_pk_add_f32 v[4:5], v[4:5], v[40:41]
	s_mov_b32 s14, 0x3f955555
	v_pk_add_f32 v[32:33], v[36:37], v[32:33] neg_lo:[0,1] neg_hi:[0,1]
	s_mov_b32 s6, 0xbf5ff5aa
	v_pk_add_f32 v[8:9], v[8:9], v[16:17] neg_lo:[0,1] neg_hi:[0,1]
	s_mov_b32 s12, 0x3f3bfb3b
	v_mov_b32_e32 v16, v54
	v_mov_b32_e32 v17, v43
	;; [unrolled: 1-line block ×4, first 2 shown]
	s_mov_b32 s0, 0xbee1c552
	v_pk_fma_f32 v[40:41], v[40:41], s[14:15], v[4:5] op_sel_hi:[1,0,1] neg_lo:[1,0,0] neg_hi:[1,0,0]
	v_pk_fma_f32 v[56:57], v[56:57], s[18:19], v[42:43]
	v_pk_fma_f32 v[50:51], v[50:51], s[8:9], v[38:39]
	v_pk_fma_f32 v[16:17], v[8:9], s[12:13], v[16:17] op_sel_hi:[1,0,1] neg_lo:[1,0,1] neg_hi:[1,0,1]
	v_pk_fma_f32 v[24:25], v[32:33], s[6:7], v[24:25] op_sel_hi:[1,0,1] neg_lo:[1,0,1] neg_hi:[1,0,1]
	v_pk_add_f32 v[56:57], v[56:57], v[40:41]
	v_pk_fma_f32 v[50:51], v[12:13], s[0:1], v[50:51] op_sel_hi:[1,0,1]
	v_pk_add_f32 v[16:17], v[16:17], v[40:41]
	v_pk_fma_f32 v[24:25], v[12:13], s[0:1], v[24:25] op_sel_hi:[1,0,1]
	v_pk_add_f32 v[58:59], v[56:57], v[50:51]
	v_pk_add_f32 v[50:51], v[56:57], v[50:51] neg_lo:[0,1] neg_hi:[0,1]
	v_pk_add_f32 v[34:35], v[16:17], v[24:25]
	v_pk_add_f32 v[16:17], v[16:17], v[24:25] neg_lo:[0,1] neg_hi:[0,1]
	v_mov_b32_e32 v56, v58
	v_mov_b32_e32 v57, v51
	;; [unrolled: 1-line block ×6, first 2 shown]
	ds_write2_b64 v190, v[56:57], v[24:25] offset0:26 offset1:52
	v_pk_fma_f32 v[8:9], v[8:9], s[12:13], v[42:43] op_sel_hi:[1,0,1] neg_lo:[0,0,1] neg_hi:[0,0,1]
	v_pk_fma_f32 v[24:25], v[32:33], s[6:7], v[38:39] op_sel_hi:[1,0,1] neg_lo:[0,0,1] neg_hi:[0,0,1]
	v_pk_add_f32 v[8:9], v[8:9], v[40:41]
	v_pk_fma_f32 v[12:13], v[12:13], s[0:1], v[24:25] op_sel_hi:[1,0,1]
	v_mov_b32_e32 v17, v35
	v_pk_add_f32 v[24:25], v[8:9], v[12:13] neg_lo:[0,1] neg_hi:[0,1]
	v_pk_add_f32 v[8:9], v[8:9], v[12:13]
	v_mov_b32_e32 v12, v24
	v_mov_b32_e32 v13, v9
	;; [unrolled: 1-line block ×3, first 2 shown]
	ds_write2_b64 v190, v[12:13], v[8:9] offset0:78 offset1:104
	v_pk_mul_f32 v[12:13], v[28:29], v[10:11] op_sel_hi:[1,0]
	v_mov_b32_e32 v8, v11
	v_pk_fma_f32 v[10:11], v[28:29], v[10:11], v[12:13] op_sel:[0,1,1] op_sel_hi:[1,1,0]
	v_pk_fma_f32 v[8:9], v[28:29], v[8:9], v[12:13] op_sel:[0,0,1] op_sel_hi:[1,1,0] neg_lo:[0,0,1] neg_hi:[0,0,1]
	v_mov_b32_e32 v10, v15
	v_pk_mul_f32 v[12:13], v[30:31], v[14:15] op_sel_hi:[1,0]
	v_mov_b32_e32 v9, v11
	v_pk_fma_f32 v[10:11], v[30:31], v[10:11], v[12:13] op_sel:[0,0,1] op_sel_hi:[1,1,0] neg_lo:[0,0,1] neg_hi:[0,0,1]
	v_pk_fma_f32 v[12:13], v[30:31], v[14:15], v[12:13] op_sel:[0,1,1] op_sel_hi:[1,1,0]
	v_pk_mul_f32 v[14:15], v[20:21], v[18:19] op_sel_hi:[1,0]
	v_mov_b32_e32 v12, v19
	v_mov_b32_e32 v51, v59
	;; [unrolled: 1-line block ×3, first 2 shown]
	v_pk_fma_f32 v[12:13], v[20:21], v[12:13], v[14:15] op_sel:[0,0,1] op_sel_hi:[1,1,0] neg_lo:[0,0,1] neg_hi:[0,0,1]
	v_pk_fma_f32 v[14:15], v[20:21], v[18:19], v[14:15] op_sel:[0,1,1] op_sel_hi:[1,1,0]
	ds_write2_b64 v190, v[16:17], v[50:51] offset0:130 offset1:156
	v_mov_b32_e32 v14, v27
	v_pk_mul_f32 v[16:17], v[22:23], v[26:27] op_sel_hi:[1,0]
	v_mov_b32_e32 v13, v15
	v_pk_fma_f32 v[14:15], v[22:23], v[14:15], v[16:17] op_sel:[0,0,1] op_sel_hi:[1,1,0] neg_lo:[0,0,1] neg_hi:[0,0,1]
	v_pk_fma_f32 v[16:17], v[22:23], v[26:27], v[16:17] op_sel:[0,1,1] op_sel_hi:[1,1,0]
	v_mov_b32_e32 v63, v8
	v_mov_b32_e32 v15, v17
	;; [unrolled: 1-line block ×5, first 2 shown]
	v_pk_add_f32 v[16:17], v[8:9], v[14:15]
	v_pk_add_f32 v[18:19], v[8:9], v[14:15] neg_lo:[0,1] neg_hi:[0,1]
	v_pk_add_f32 v[20:21], v[10:11], v[12:13]
	v_pk_add_f32 v[22:23], v[10:11], v[12:13] neg_lo:[0,1] neg_hi:[0,1]
	v_pk_add_f32 v[8:9], v[62:63], v[64:65]
	v_pk_add_f32 v[10:11], v[48:49], v[60:61]
	v_mov_b32_e32 v47, v8
	v_mov_b32_e32 v45, v10
	v_pk_add_f32 v[12:13], v[46:47], v[44:45] neg_lo:[0,1] neg_hi:[0,1]
	v_mov_b32_e32 v28, v21
	v_mov_b32_e32 v29, v44
	;; [unrolled: 1-line block ×8, first 2 shown]
	v_pk_add_f32 v[28:29], v[28:29], v[30:31]
	v_pk_add_f32 v[30:31], v[10:11], v[8:9]
	v_pk_add_f32 v[14:15], v[14:15], v[24:25] neg_lo:[0,1] neg_hi:[0,1]
	v_mov_b32_e32 v24, v18
	v_mov_b32_e32 v26, v12
	;; [unrolled: 1-line block ×9, first 2 shown]
	v_pk_add_f32 v[24:25], v[24:25], v[26:27] neg_lo:[0,1] neg_hi:[0,1]
	v_pk_add_f32 v[32:33], v[8:9], v[32:33] neg_lo:[0,1] neg_hi:[0,1]
	;; [unrolled: 1-line block ×3, first 2 shown]
	v_pk_add_f32 v[28:29], v[28:29], v[30:31]
	v_pk_mul_f32 v[14:15], v[14:15], s[10:11]
	v_pk_mul_f32 v[26:27], v[24:25], s[8:9]
	v_pk_add_f32 v[6:7], v[6:7], v[28:29]
	v_pk_mul_f32 v[30:31], v[32:33], s[16:17]
	v_pk_mul_f32 v[32:33], v[34:35], s[18:19]
	v_mov_b32_e32 v10, v21
	v_mov_b32_e32 v8, v17
	v_pk_add_f32 v[12:13], v[12:13], v[22:23]
	v_pk_fma_f32 v[28:29], v[28:29], s[14:15], v[6:7] op_sel_hi:[1,0,1] neg_lo:[1,0,0] neg_hi:[1,0,0]
	ds_write2_b64 v190, v[4:5], v[6:7] offset1:13
	v_pk_add_f32 v[6:7], v[22:23], v[18:19] neg_lo:[0,1] neg_hi:[0,1]
	v_pk_add_f32 v[8:9], v[10:11], v[8:9] neg_lo:[0,1] neg_hi:[0,1]
	v_mov_b32_e32 v10, v32
	v_mov_b32_e32 v11, v31
	;; [unrolled: 1-line block ×4, first 2 shown]
	v_pk_add_f32 v[12:13], v[12:13], v[18:19]
	v_pk_fma_f32 v[34:35], v[34:35], s[18:19], v[30:31]
	v_pk_fma_f32 v[24:25], v[24:25], s[8:9], v[14:15]
	v_pk_fma_f32 v[10:11], v[8:9], s[12:13], v[10:11] op_sel_hi:[1,0,1] neg_lo:[1,0,1] neg_hi:[1,0,1]
	v_pk_fma_f32 v[16:17], v[6:7], s[6:7], v[16:17] op_sel_hi:[1,0,1] neg_lo:[1,0,1] neg_hi:[1,0,1]
	v_pk_add_f32 v[34:35], v[34:35], v[28:29]
	v_pk_fma_f32 v[24:25], v[12:13], s[0:1], v[24:25] op_sel_hi:[1,0,1]
	v_pk_add_f32 v[10:11], v[10:11], v[28:29]
	v_pk_fma_f32 v[16:17], v[12:13], s[0:1], v[16:17] op_sel_hi:[1,0,1]
	v_pk_add_f32 v[36:37], v[34:35], v[24:25]
	v_pk_add_f32 v[24:25], v[34:35], v[24:25] neg_lo:[0,1] neg_hi:[0,1]
	v_pk_add_f32 v[18:19], v[10:11], v[16:17]
	v_pk_add_f32 v[10:11], v[10:11], v[16:17] neg_lo:[0,1] neg_hi:[0,1]
	v_mov_b32_e32 v4, v36
	v_mov_b32_e32 v5, v25
	;; [unrolled: 1-line block ×6, first 2 shown]
	ds_write2_b64 v159, v[4:5], v[16:17] offset0:26 offset1:52
	v_pk_fma_f32 v[4:5], v[8:9], s[12:13], v[30:31] op_sel_hi:[1,0,1] neg_lo:[0,0,1] neg_hi:[0,0,1]
	v_pk_fma_f32 v[6:7], v[6:7], s[6:7], v[14:15] op_sel_hi:[1,0,1] neg_lo:[0,0,1] neg_hi:[0,0,1]
	v_pk_add_f32 v[4:5], v[4:5], v[28:29]
	v_pk_fma_f32 v[6:7], v[12:13], s[0:1], v[6:7] op_sel_hi:[1,0,1]
	v_mov_b32_e32 v11, v19
	v_pk_add_f32 v[8:9], v[4:5], v[6:7] neg_lo:[0,1] neg_hi:[0,1]
	v_pk_add_f32 v[4:5], v[4:5], v[6:7]
	v_mov_b32_e32 v6, v8
	v_mov_b32_e32 v7, v5
	;; [unrolled: 1-line block ×4, first 2 shown]
	ds_write2_b64 v159, v[6:7], v[4:5] offset0:78 offset1:104
	ds_write2_b64 v159, v[10:11], v[24:25] offset0:130 offset1:156
	s_waitcnt lgkmcnt(0)
	; wave barrier
	s_waitcnt lgkmcnt(0)
	ds_read2_b64 v[4:7], v190 offset1:14
	v_mov_b32_e32 v8, v3
	v_mad_u64_u32 v[8:9], s[0:1], s7, v84, v[8:9]
	v_mov_b32_e32 v3, v8
	s_waitcnt lgkmcnt(0)
	v_mul_f32_e32 v8, v101, v5
	v_fmac_f32_e32 v8, v100, v4
	v_mul_f32_e32 v4, v101, v4
	s_mov_b32 s0, 0x16816817
	v_fma_f32 v4, v100, v5, -v4
	v_cvt_f64_f32_e32 v[8:9], v8
	s_mov_b32 s1, 0x3f768168
	v_cvt_f64_f32_e32 v[4:5], v4
	v_mul_f64 v[8:9], v[8:9], s[0:1]
	v_mul_f64 v[4:5], v[4:5], s[0:1]
	v_cvt_f32_f64_e32 v8, v[8:9]
	v_cvt_f32_f64_e32 v9, v[4:5]
	v_mad_u64_u32 v[4:5], s[6:7], s4, v254, 0
	v_mov_b32_e32 v10, v5
	v_lshl_add_u64 v[0:1], v[2:3], 3, v[0:1]
	v_mul_f32_e32 v2, v99, v7
	v_mad_u64_u32 v[10:11], s[6:7], s5, v254, v[10:11]
	v_fmac_f32_e32 v2, v98, v6
	v_mov_b32_e32 v5, v10
	v_cvt_f64_f32_e32 v[2:3], v2
	v_lshl_add_u64 v[10:11], v[4:5], 3, v[0:1]
	v_mul_f64 v[2:3], v[2:3], s[0:1]
	global_store_dwordx2 v[10:11], v[8:9], off
	v_cvt_f32_f64_e32 v8, v[2:3]
	v_mul_f32_e32 v2, v99, v6
	v_fma_f32 v2, v98, v7, -v2
	v_cvt_f64_f32_e32 v[2:3], v2
	v_mul_f64 v[2:3], v[2:3], s[0:1]
	v_cvt_f32_f64_e32 v9, v[2:3]
	ds_read2_b64 v[2:5], v190 offset0:28 offset1:42
	v_mov_b32_e32 v12, 0x70
	v_mad_u64_u32 v[6:7], s[6:7], s4, v12, v[10:11]
	s_mul_i32 s6, s5, 0x70
	s_nop 0
	v_add_u32_e32 v7, s6, v7
	global_store_dwordx2 v[6:7], v[8:9], off
	s_waitcnt lgkmcnt(0)
	v_mul_f32_e32 v8, v93, v3
	v_fmac_f32_e32 v8, v92, v2
	v_mul_f32_e32 v2, v93, v2
	v_fma_f32 v2, v92, v3, -v2
	v_cvt_f64_f32_e32 v[8:9], v8
	v_cvt_f64_f32_e32 v[2:3], v2
	v_mul_f64 v[8:9], v[8:9], s[0:1]
	v_mul_f64 v[2:3], v[2:3], s[0:1]
	v_cvt_f32_f64_e32 v8, v[8:9]
	v_cvt_f32_f64_e32 v9, v[2:3]
	v_mul_f32_e32 v2, v91, v5
	v_fmac_f32_e32 v2, v90, v4
	v_mad_u64_u32 v[6:7], s[8:9], s4, v12, v[6:7]
	v_cvt_f64_f32_e32 v[2:3], v2
	v_add_u32_e32 v7, s6, v7
	v_mul_f64 v[2:3], v[2:3], s[0:1]
	global_store_dwordx2 v[6:7], v[8:9], off
	v_cvt_f32_f64_e32 v8, v[2:3]
	v_mul_f32_e32 v2, v91, v4
	v_fma_f32 v2, v90, v5, -v2
	v_cvt_f64_f32_e32 v[2:3], v2
	v_mul_f64 v[2:3], v[2:3], s[0:1]
	v_cvt_f32_f64_e32 v9, v[2:3]
	ds_read2_b64 v[2:5], v190 offset0:56 offset1:70
	v_mad_u64_u32 v[6:7], s[8:9], s4, v12, v[6:7]
	v_add_u32_e32 v7, s6, v7
	global_store_dwordx2 v[6:7], v[8:9], off
	s_waitcnt lgkmcnt(0)
	v_mul_f32_e32 v8, v97, v3
	v_fmac_f32_e32 v8, v96, v2
	v_mul_f32_e32 v2, v97, v2
	v_fma_f32 v2, v96, v3, -v2
	v_cvt_f64_f32_e32 v[8:9], v8
	v_cvt_f64_f32_e32 v[2:3], v2
	v_mul_f64 v[8:9], v[8:9], s[0:1]
	v_mul_f64 v[2:3], v[2:3], s[0:1]
	v_cvt_f32_f64_e32 v8, v[8:9]
	v_cvt_f32_f64_e32 v9, v[2:3]
	v_mul_f32_e32 v2, v95, v5
	v_fmac_f32_e32 v2, v94, v4
	v_mad_u64_u32 v[6:7], s[8:9], s4, v12, v[6:7]
	v_cvt_f64_f32_e32 v[2:3], v2
	v_add_u32_e32 v7, s6, v7
	v_mul_f64 v[2:3], v[2:3], s[0:1]
	global_store_dwordx2 v[6:7], v[8:9], off
	v_cvt_f32_f64_e32 v8, v[2:3]
	v_mul_f32_e32 v2, v95, v4
	v_fma_f32 v2, v94, v5, -v2
	v_cvt_f64_f32_e32 v[2:3], v2
	v_mul_f64 v[2:3], v[2:3], s[0:1]
	v_cvt_f32_f64_e32 v9, v[2:3]
	ds_read2_b64 v[2:5], v190 offset0:84 offset1:98
	v_mad_u64_u32 v[6:7], s[8:9], s4, v12, v[6:7]
	v_add_u32_e32 v7, s6, v7
	global_store_dwordx2 v[6:7], v[8:9], off
	s_waitcnt lgkmcnt(0)
	v_mul_f32_e32 v8, v89, v3
	v_fmac_f32_e32 v8, v88, v2
	v_mul_f32_e32 v2, v89, v2
	v_fma_f32 v2, v88, v3, -v2
	v_cvt_f64_f32_e32 v[8:9], v8
	v_cvt_f64_f32_e32 v[2:3], v2
	v_mul_f64 v[8:9], v[8:9], s[0:1]
	v_mul_f64 v[2:3], v[2:3], s[0:1]
	v_accvgpr_read_b32 v11, a9
	v_cvt_f32_f64_e32 v8, v[8:9]
	v_cvt_f32_f64_e32 v9, v[2:3]
	v_accvgpr_read_b32 v10, a8
	v_mul_f32_e32 v2, v11, v5
	v_fmac_f32_e32 v2, v10, v4
	v_mad_u64_u32 v[6:7], s[8:9], s4, v12, v[6:7]
	v_cvt_f64_f32_e32 v[2:3], v2
	v_add_u32_e32 v7, s6, v7
	v_mul_f64 v[2:3], v[2:3], s[0:1]
	global_store_dwordx2 v[6:7], v[8:9], off
	v_cvt_f32_f64_e32 v8, v[2:3]
	v_mul_f32_e32 v2, v11, v4
	v_fma_f32 v2, v10, v5, -v2
	v_cvt_f64_f32_e32 v[2:3], v2
	v_mul_f64 v[2:3], v[2:3], s[0:1]
	v_cvt_f32_f64_e32 v9, v[2:3]
	ds_read2_b64 v[2:5], v190 offset0:112 offset1:126
	v_mad_u64_u32 v[6:7], s[8:9], s4, v12, v[6:7]
	v_add_u32_e32 v7, s6, v7
	global_store_dwordx2 v[6:7], v[8:9], off
	s_waitcnt lgkmcnt(0)
	v_mul_f32_e32 v8, v83, v3
	v_fmac_f32_e32 v8, v82, v2
	v_mul_f32_e32 v2, v83, v2
	v_fma_f32 v2, v82, v3, -v2
	v_cvt_f64_f32_e32 v[8:9], v8
	v_cvt_f64_f32_e32 v[2:3], v2
	v_mul_f64 v[8:9], v[8:9], s[0:1]
	v_mul_f64 v[2:3], v[2:3], s[0:1]
	v_cvt_f32_f64_e32 v8, v[8:9]
	v_cvt_f32_f64_e32 v9, v[2:3]
	v_mad_u64_u32 v[2:3], s[8:9], s4, v193, 0
	v_mov_b32_e32 v10, v3
	v_mad_u64_u32 v[10:11], s[8:9], s5, v193, v[10:11]
	v_mov_b32_e32 v3, v10
	v_lshl_add_u64 v[2:3], v[2:3], 3, v[0:1]
	v_accvgpr_read_b32 v11, a7
	global_store_dwordx2 v[2:3], v[8:9], off
	v_accvgpr_read_b32 v10, a6
	v_mul_f32_e32 v2, v11, v5
	v_fmac_f32_e32 v2, v10, v4
	v_cvt_f64_f32_e32 v[2:3], v2
	v_mul_f64 v[2:3], v[2:3], s[0:1]
	v_cvt_f32_f64_e32 v8, v[2:3]
	v_mul_f32_e32 v2, v11, v4
	v_fma_f32 v2, v10, v5, -v2
	v_cvt_f64_f32_e32 v[2:3], v2
	v_mul_f64 v[2:3], v[2:3], s[0:1]
	v_cvt_f32_f64_e32 v9, v[2:3]
	ds_read2_b64 v[2:5], v190 offset0:140 offset1:154
	v_mov_b32_e32 v10, 0xe0
	v_mad_u64_u32 v[6:7], s[8:9], s4, v10, v[6:7]
	s_mul_i32 s7, s5, 0xe0
	v_add_u32_e32 v7, s7, v7
	v_accvgpr_read_b32 v11, a5
	global_store_dwordx2 v[6:7], v[8:9], off
	v_accvgpr_read_b32 v10, a4
	s_waitcnt lgkmcnt(0)
	v_mul_f32_e32 v8, v11, v3
	v_fmac_f32_e32 v8, v10, v2
	v_mul_f32_e32 v2, v11, v2
	v_fma_f32 v2, v10, v3, -v2
	v_cvt_f64_f32_e32 v[8:9], v8
	v_cvt_f64_f32_e32 v[2:3], v2
	v_mul_f64 v[8:9], v[8:9], s[0:1]
	v_mul_f64 v[2:3], v[2:3], s[0:1]
	v_cvt_f32_f64_e32 v8, v[8:9]
	v_cvt_f32_f64_e32 v9, v[2:3]
	v_mad_u64_u32 v[2:3], s[8:9], s4, v12, v[6:7]
	v_add_u32_e32 v3, s6, v3
	global_store_dwordx2 v[2:3], v[8:9], off
	v_accvgpr_read_b32 v9, a3
	v_accvgpr_read_b32 v8, a2
	v_mul_f32_e32 v6, v9, v5
	v_fmac_f32_e32 v6, v8, v4
	v_mul_f32_e32 v4, v9, v4
	v_fma_f32 v4, v8, v5, -v4
	v_cvt_f64_f32_e32 v[6:7], v6
	v_cvt_f64_f32_e32 v[4:5], v4
	v_mul_f64 v[6:7], v[6:7], s[0:1]
	v_mul_f64 v[4:5], v[4:5], s[0:1]
	v_cvt_f32_f64_e32 v6, v[6:7]
	v_cvt_f32_f64_e32 v7, v[4:5]
	ds_read_b64 v[4:5], v190 offset:1344
	v_mad_u64_u32 v[2:3], s[8:9], s4, v12, v[2:3]
	v_add_u32_e32 v3, s6, v3
	v_accvgpr_read_b32 v9, a1
	global_store_dwordx2 v[2:3], v[6:7], off
	v_accvgpr_read_b32 v8, a0
	s_waitcnt lgkmcnt(0)
	v_mul_f32_e32 v6, v9, v5
	v_fmac_f32_e32 v6, v8, v4
	v_mul_f32_e32 v4, v9, v4
	v_fma_f32 v4, v8, v5, -v4
	v_cvt_f64_f32_e32 v[6:7], v6
	v_cvt_f64_f32_e32 v[4:5], v4
	v_mul_f64 v[6:7], v[6:7], s[0:1]
	v_mul_f64 v[4:5], v[4:5], s[0:1]
	v_mad_u64_u32 v[2:3], s[8:9], s4, v12, v[2:3]
	v_cvt_f32_f64_e32 v6, v[6:7]
	v_cvt_f32_f64_e32 v7, v[4:5]
	v_add_u32_e32 v3, s6, v3
	global_store_dwordx2 v[2:3], v[6:7], off
	s_and_b64 exec, exec, vcc
	s_cbranch_execz .LBB0_15
; %bb.14:
	ds_read2_b64 v[2:5], v85 offset0:13 offset1:27
	s_load_dwordx2 s[6:7], s[2:3], 0x68
	s_waitcnt lgkmcnt(0)
	v_mul_f32_e32 v6, s7, v3
	v_mul_f32_e32 v7, s7, v2
	v_fmac_f32_e32 v6, s6, v2
	v_fma_f32 v7, s6, v3, -v7
	v_cvt_f64_f32_e32 v[2:3], v6
	v_cvt_f64_f32_e32 v[6:7], v7
	v_mul_f64 v[2:3], v[2:3], s[0:1]
	v_mul_f64 v[6:7], v[6:7], s[0:1]
	v_cvt_f32_f64_e32 v2, v[2:3]
	v_cvt_f32_f64_e32 v3, v[6:7]
	v_mov_b32_e32 v6, 0x68
	v_mad_u64_u32 v[6:7], s[6:7], s4, v6, v[0:1]
	s_mul_i32 s6, s5, 0x68
	s_nop 0
	v_add_u32_e32 v7, s6, v7
	global_store_dwordx2 v[6:7], v[2:3], off
	s_load_dwordx2 s[6:7], s[2:3], 0xd8
	s_waitcnt lgkmcnt(0)
	v_mul_f32_e32 v2, s7, v5
	v_fmac_f32_e32 v2, s6, v4
	v_cvt_f64_f32_e32 v[2:3], v2
	v_mul_f64 v[2:3], v[2:3], s[0:1]
	v_cvt_f32_f64_e32 v2, v[2:3]
	v_mul_f32_e32 v3, s7, v4
	v_fma_f32 v3, s6, v5, -v3
	v_cvt_f64_f32_e32 v[4:5], v3
	v_mul_f64 v[4:5], v[4:5], s[0:1]
	v_cvt_f32_f64_e32 v3, v[4:5]
	v_mov_b32_e32 v4, 0xd8
	v_mad_u64_u32 v[4:5], s[6:7], s4, v4, v[0:1]
	s_mul_i32 s6, s5, 0xd8
	s_nop 0
	v_add_u32_e32 v5, s6, v5
	global_store_dwordx2 v[4:5], v[2:3], off
	ds_read2_b64 v[2:5], v85 offset0:41 offset1:55
	s_load_dwordx2 s[6:7], s[2:3], 0x148
	s_waitcnt lgkmcnt(0)
	v_mul_f32_e32 v6, s7, v3
	v_fmac_f32_e32 v6, s6, v2
	v_mul_f32_e32 v2, s7, v2
	v_fma_f32 v2, s6, v3, -v2
	v_cvt_f64_f32_e32 v[6:7], v6
	v_cvt_f64_f32_e32 v[2:3], v2
	v_mul_f64 v[6:7], v[6:7], s[0:1]
	v_mul_f64 v[2:3], v[2:3], s[0:1]
	v_cvt_f32_f64_e32 v6, v[6:7]
	v_cvt_f32_f64_e32 v7, v[2:3]
	v_mov_b32_e32 v2, 0x148
	v_mad_u64_u32 v[2:3], s[6:7], s4, v2, v[0:1]
	s_mul_i32 s6, s5, 0x148
	s_nop 0
	v_add_u32_e32 v3, s6, v3
	global_store_dwordx2 v[2:3], v[6:7], off
	s_load_dwordx2 s[6:7], s[2:3], 0x1b8
	s_waitcnt lgkmcnt(0)
	v_mul_f32_e32 v2, s7, v5
	v_fmac_f32_e32 v2, s6, v4
	v_cvt_f64_f32_e32 v[2:3], v2
	v_mul_f64 v[2:3], v[2:3], s[0:1]
	v_cvt_f32_f64_e32 v2, v[2:3]
	v_mul_f32_e32 v3, s7, v4
	v_fma_f32 v3, s6, v5, -v3
	v_cvt_f64_f32_e32 v[4:5], v3
	v_mul_f64 v[4:5], v[4:5], s[0:1]
	v_cvt_f32_f64_e32 v3, v[4:5]
	v_mov_b32_e32 v4, 0x1b8
	v_mad_u64_u32 v[4:5], s[6:7], s4, v4, v[0:1]
	s_mul_i32 s6, s5, 0x1b8
	s_nop 0
	v_add_u32_e32 v5, s6, v5
	global_store_dwordx2 v[4:5], v[2:3], off
	ds_read2_b64 v[2:5], v85 offset0:69 offset1:83
	s_load_dwordx2 s[6:7], s[2:3], 0x228
	s_waitcnt lgkmcnt(0)
	v_mul_f32_e32 v6, s7, v3
	v_fmac_f32_e32 v6, s6, v2
	v_mul_f32_e32 v2, s7, v2
	v_fma_f32 v2, s6, v3, -v2
	v_cvt_f64_f32_e32 v[6:7], v6
	v_cvt_f64_f32_e32 v[2:3], v2
	v_mul_f64 v[6:7], v[6:7], s[0:1]
	v_mul_f64 v[2:3], v[2:3], s[0:1]
	v_cvt_f32_f64_e32 v6, v[6:7]
	v_cvt_f32_f64_e32 v7, v[2:3]
	v_mov_b32_e32 v2, 0x228
	v_mad_u64_u32 v[2:3], s[6:7], s4, v2, v[0:1]
	s_mul_i32 s6, s5, 0x228
	s_nop 0
	v_add_u32_e32 v3, s6, v3
	global_store_dwordx2 v[2:3], v[6:7], off
	s_load_dwordx2 s[6:7], s[2:3], 0x298
	s_waitcnt lgkmcnt(0)
	v_mul_f32_e32 v2, s7, v5
	v_fmac_f32_e32 v2, s6, v4
	v_cvt_f64_f32_e32 v[2:3], v2
	v_mul_f64 v[2:3], v[2:3], s[0:1]
	v_cvt_f32_f64_e32 v2, v[2:3]
	v_mul_f32_e32 v3, s7, v4
	v_fma_f32 v3, s6, v5, -v3
	v_cvt_f64_f32_e32 v[4:5], v3
	v_mul_f64 v[4:5], v[4:5], s[0:1]
	v_cvt_f32_f64_e32 v3, v[4:5]
	v_mov_b32_e32 v4, 0x298
	v_mad_u64_u32 v[4:5], s[6:7], s4, v4, v[0:1]
	s_mul_i32 s6, s5, 0x298
	s_nop 0
	v_add_u32_e32 v5, s6, v5
	global_store_dwordx2 v[4:5], v[2:3], off
	ds_read2_b64 v[2:5], v85 offset0:97 offset1:111
	s_load_dwordx2 s[6:7], s[2:3], 0x308
	s_waitcnt lgkmcnt(0)
	v_mul_f32_e32 v6, s7, v3
	v_fmac_f32_e32 v6, s6, v2
	v_mul_f32_e32 v2, s7, v2
	v_fma_f32 v2, s6, v3, -v2
	v_cvt_f64_f32_e32 v[6:7], v6
	v_cvt_f64_f32_e32 v[2:3], v2
	v_mul_f64 v[6:7], v[6:7], s[0:1]
	v_mul_f64 v[2:3], v[2:3], s[0:1]
	v_cvt_f32_f64_e32 v6, v[6:7]
	v_cvt_f32_f64_e32 v7, v[2:3]
	v_mov_b32_e32 v2, 0x308
	v_mad_u64_u32 v[2:3], s[6:7], s4, v2, v[0:1]
	s_mul_i32 s6, s5, 0x308
	s_nop 0
	v_add_u32_e32 v3, s6, v3
	global_store_dwordx2 v[2:3], v[6:7], off
	s_load_dwordx2 s[6:7], s[2:3], 0x378
	s_waitcnt lgkmcnt(0)
	v_mul_f32_e32 v2, s7, v5
	v_fmac_f32_e32 v2, s6, v4
	v_cvt_f64_f32_e32 v[2:3], v2
	v_mul_f64 v[2:3], v[2:3], s[0:1]
	v_cvt_f32_f64_e32 v2, v[2:3]
	v_mul_f32_e32 v3, s7, v4
	v_fma_f32 v3, s6, v5, -v3
	v_cvt_f64_f32_e32 v[4:5], v3
	v_mul_f64 v[4:5], v[4:5], s[0:1]
	v_cvt_f32_f64_e32 v3, v[4:5]
	v_mov_b32_e32 v4, 0x378
	v_mad_u64_u32 v[4:5], s[6:7], s4, v4, v[0:1]
	s_mul_i32 s6, s5, 0x378
	s_nop 0
	v_add_u32_e32 v5, s6, v5
	global_store_dwordx2 v[4:5], v[2:3], off
	ds_read2_b64 v[2:5], v85 offset0:125 offset1:139
	s_load_dwordx2 s[6:7], s[2:3], 0x3e8
	s_waitcnt lgkmcnt(0)
	v_mul_f32_e32 v6, s7, v3
	v_fmac_f32_e32 v6, s6, v2
	v_mul_f32_e32 v2, s7, v2
	v_fma_f32 v2, s6, v3, -v2
	v_cvt_f64_f32_e32 v[6:7], v6
	v_cvt_f64_f32_e32 v[2:3], v2
	v_mul_f64 v[6:7], v[6:7], s[0:1]
	v_mul_f64 v[2:3], v[2:3], s[0:1]
	v_cvt_f32_f64_e32 v6, v[6:7]
	v_cvt_f32_f64_e32 v7, v[2:3]
	v_mov_b32_e32 v2, 0x3e8
	v_mad_u64_u32 v[2:3], s[6:7], s4, v2, v[0:1]
	s_mul_i32 s6, s5, 0x3e8
	s_nop 0
	v_add_u32_e32 v3, s6, v3
	global_store_dwordx2 v[2:3], v[6:7], off
	s_load_dwordx2 s[6:7], s[2:3], 0x458
	s_waitcnt lgkmcnt(0)
	v_mul_f32_e32 v2, s7, v5
	v_fmac_f32_e32 v2, s6, v4
	v_cvt_f64_f32_e32 v[2:3], v2
	v_mul_f64 v[2:3], v[2:3], s[0:1]
	v_cvt_f32_f64_e32 v2, v[2:3]
	v_mul_f32_e32 v3, s7, v4
	v_fma_f32 v3, s6, v5, -v3
	v_cvt_f64_f32_e32 v[4:5], v3
	v_mul_f64 v[4:5], v[4:5], s[0:1]
	v_cvt_f32_f64_e32 v3, v[4:5]
	v_mov_b32_e32 v4, 0x458
	v_mad_u64_u32 v[4:5], s[6:7], s4, v4, v[0:1]
	s_mul_i32 s6, s5, 0x458
	s_nop 0
	v_add_u32_e32 v5, s6, v5
	global_store_dwordx2 v[4:5], v[2:3], off
	ds_read2_b64 v[2:5], v85 offset0:153 offset1:167
	s_load_dwordx2 s[6:7], s[2:3], 0x4c8
	s_waitcnt lgkmcnt(0)
	v_mul_f32_e32 v6, s7, v3
	v_fmac_f32_e32 v6, s6, v2
	v_mul_f32_e32 v2, s7, v2
	v_fma_f32 v2, s6, v3, -v2
	v_cvt_f64_f32_e32 v[6:7], v6
	v_cvt_f64_f32_e32 v[2:3], v2
	v_mul_f64 v[6:7], v[6:7], s[0:1]
	v_mul_f64 v[2:3], v[2:3], s[0:1]
	v_cvt_f32_f64_e32 v6, v[6:7]
	v_cvt_f32_f64_e32 v7, v[2:3]
	v_mov_b32_e32 v2, 0x4c8
	v_mad_u64_u32 v[2:3], s[6:7], s4, v2, v[0:1]
	s_mul_i32 s6, s5, 0x4c8
	s_nop 0
	v_add_u32_e32 v3, s6, v3
	global_store_dwordx2 v[2:3], v[6:7], off
	s_load_dwordx2 s[6:7], s[2:3], 0x538
	s_waitcnt lgkmcnt(0)
	v_mul_f32_e32 v2, s7, v5
	v_fmac_f32_e32 v2, s6, v4
	v_cvt_f64_f32_e32 v[2:3], v2
	v_mul_f64 v[2:3], v[2:3], s[0:1]
	v_cvt_f32_f64_e32 v2, v[2:3]
	v_mul_f32_e32 v3, s7, v4
	v_fma_f32 v3, s6, v5, -v3
	v_cvt_f64_f32_e32 v[4:5], v3
	v_mul_f64 v[4:5], v[4:5], s[0:1]
	v_cvt_f32_f64_e32 v3, v[4:5]
	v_mov_b32_e32 v4, 0x538
	v_mad_u64_u32 v[4:5], s[6:7], s4, v4, v[0:1]
	s_mul_i32 s6, s5, 0x538
	s_nop 0
	v_add_u32_e32 v5, s6, v5
	global_store_dwordx2 v[4:5], v[2:3], off
	ds_read_b64 v[2:3], v85 offset:1448
	s_load_dwordx2 s[2:3], s[2:3], 0x5a8
	s_waitcnt lgkmcnt(0)
	v_mul_f32_e32 v4, s3, v3
	v_fmac_f32_e32 v4, s2, v2
	v_mul_f32_e32 v2, s3, v2
	v_fma_f32 v2, s2, v3, -v2
	v_cvt_f64_f32_e32 v[4:5], v4
	v_cvt_f64_f32_e32 v[2:3], v2
	v_mul_f64 v[4:5], v[4:5], s[0:1]
	v_mul_f64 v[2:3], v[2:3], s[0:1]
	v_cvt_f32_f64_e32 v4, v[4:5]
	v_cvt_f32_f64_e32 v5, v[2:3]
	v_mov_b32_e32 v2, 0x5a8
	v_mad_u64_u32 v[0:1], s[0:1], s4, v2, v[0:1]
	s_mul_i32 s0, s5, 0x5a8
	s_nop 0
	v_add_u32_e32 v1, s0, v1
	global_store_dwordx2 v[0:1], v[4:5], off
.LBB0_15:
	s_endpgm
	.section	.rodata,"a",@progbits
	.p2align	6, 0x0
	.amdhsa_kernel bluestein_single_fwd_len182_dim1_sp_op_CI_CI
		.amdhsa_group_segment_fixed_size 5824
		.amdhsa_private_segment_fixed_size 0
		.amdhsa_kernarg_size 104
		.amdhsa_user_sgpr_count 2
		.amdhsa_user_sgpr_dispatch_ptr 0
		.amdhsa_user_sgpr_queue_ptr 0
		.amdhsa_user_sgpr_kernarg_segment_ptr 1
		.amdhsa_user_sgpr_dispatch_id 0
		.amdhsa_user_sgpr_kernarg_preload_length 0
		.amdhsa_user_sgpr_kernarg_preload_offset 0
		.amdhsa_user_sgpr_private_segment_size 0
		.amdhsa_uses_dynamic_stack 0
		.amdhsa_enable_private_segment 0
		.amdhsa_system_sgpr_workgroup_id_x 1
		.amdhsa_system_sgpr_workgroup_id_y 0
		.amdhsa_system_sgpr_workgroup_id_z 0
		.amdhsa_system_sgpr_workgroup_info 0
		.amdhsa_system_vgpr_workitem_id 0
		.amdhsa_next_free_vgpr 267
		.amdhsa_next_free_sgpr 54
		.amdhsa_accum_offset 256
		.amdhsa_reserve_vcc 1
		.amdhsa_float_round_mode_32 0
		.amdhsa_float_round_mode_16_64 0
		.amdhsa_float_denorm_mode_32 3
		.amdhsa_float_denorm_mode_16_64 3
		.amdhsa_dx10_clamp 1
		.amdhsa_ieee_mode 1
		.amdhsa_fp16_overflow 0
		.amdhsa_tg_split 0
		.amdhsa_exception_fp_ieee_invalid_op 0
		.amdhsa_exception_fp_denorm_src 0
		.amdhsa_exception_fp_ieee_div_zero 0
		.amdhsa_exception_fp_ieee_overflow 0
		.amdhsa_exception_fp_ieee_underflow 0
		.amdhsa_exception_fp_ieee_inexact 0
		.amdhsa_exception_int_div_zero 0
	.end_amdhsa_kernel
	.text
.Lfunc_end0:
	.size	bluestein_single_fwd_len182_dim1_sp_op_CI_CI, .Lfunc_end0-bluestein_single_fwd_len182_dim1_sp_op_CI_CI
                                        ; -- End function
	.section	.AMDGPU.csdata,"",@progbits
; Kernel info:
; codeLenInByte = 19740
; NumSgprs: 60
; NumVgprs: 256
; NumAgprs: 11
; TotalNumVgprs: 267
; ScratchSize: 0
; MemoryBound: 0
; FloatMode: 240
; IeeeMode: 1
; LDSByteSize: 5824 bytes/workgroup (compile time only)
; SGPRBlocks: 7
; VGPRBlocks: 33
; NumSGPRsForWavesPerEU: 60
; NumVGPRsForWavesPerEU: 267
; AccumOffset: 256
; Occupancy: 1
; WaveLimiterHint : 1
; COMPUTE_PGM_RSRC2:SCRATCH_EN: 0
; COMPUTE_PGM_RSRC2:USER_SGPR: 2
; COMPUTE_PGM_RSRC2:TRAP_HANDLER: 0
; COMPUTE_PGM_RSRC2:TGID_X_EN: 1
; COMPUTE_PGM_RSRC2:TGID_Y_EN: 0
; COMPUTE_PGM_RSRC2:TGID_Z_EN: 0
; COMPUTE_PGM_RSRC2:TIDIG_COMP_CNT: 0
; COMPUTE_PGM_RSRC3_GFX90A:ACCUM_OFFSET: 63
; COMPUTE_PGM_RSRC3_GFX90A:TG_SPLIT: 0
	.text
	.p2alignl 6, 3212836864
	.fill 256, 4, 3212836864
	.type	__hip_cuid_fbdd7be16f5608fa,@object ; @__hip_cuid_fbdd7be16f5608fa
	.section	.bss,"aw",@nobits
	.globl	__hip_cuid_fbdd7be16f5608fa
__hip_cuid_fbdd7be16f5608fa:
	.byte	0                               ; 0x0
	.size	__hip_cuid_fbdd7be16f5608fa, 1

	.ident	"AMD clang version 19.0.0git (https://github.com/RadeonOpenCompute/llvm-project roc-6.4.0 25133 c7fe45cf4b819c5991fe208aaa96edf142730f1d)"
	.section	".note.GNU-stack","",@progbits
	.addrsig
	.addrsig_sym __hip_cuid_fbdd7be16f5608fa
	.amdgpu_metadata
---
amdhsa.kernels:
  - .agpr_count:     11
    .args:
      - .actual_access:  read_only
        .address_space:  global
        .offset:         0
        .size:           8
        .value_kind:     global_buffer
      - .actual_access:  read_only
        .address_space:  global
        .offset:         8
        .size:           8
        .value_kind:     global_buffer
      - .actual_access:  read_only
        .address_space:  global
        .offset:         16
        .size:           8
        .value_kind:     global_buffer
      - .actual_access:  read_only
        .address_space:  global
        .offset:         24
        .size:           8
        .value_kind:     global_buffer
      - .actual_access:  read_only
        .address_space:  global
        .offset:         32
        .size:           8
        .value_kind:     global_buffer
      - .offset:         40
        .size:           8
        .value_kind:     by_value
      - .address_space:  global
        .offset:         48
        .size:           8
        .value_kind:     global_buffer
      - .address_space:  global
        .offset:         56
        .size:           8
        .value_kind:     global_buffer
      - .address_space:  global
        .offset:         64
        .size:           8
        .value_kind:     global_buffer
      - .address_space:  global
        .offset:         72
        .size:           8
        .value_kind:     global_buffer
      - .offset:         80
        .size:           4
        .value_kind:     by_value
      - .address_space:  global
        .offset:         88
        .size:           8
        .value_kind:     global_buffer
      - .address_space:  global
        .offset:         96
        .size:           8
        .value_kind:     global_buffer
    .group_segment_fixed_size: 5824
    .kernarg_segment_align: 8
    .kernarg_segment_size: 104
    .language:       OpenCL C
    .language_version:
      - 2
      - 0
    .max_flat_workgroup_size: 52
    .name:           bluestein_single_fwd_len182_dim1_sp_op_CI_CI
    .private_segment_fixed_size: 0
    .sgpr_count:     60
    .sgpr_spill_count: 0
    .symbol:         bluestein_single_fwd_len182_dim1_sp_op_CI_CI.kd
    .uniform_work_group_size: 1
    .uses_dynamic_stack: false
    .vgpr_count:     267
    .vgpr_spill_count: 0
    .wavefront_size: 64
amdhsa.target:   amdgcn-amd-amdhsa--gfx950
amdhsa.version:
  - 1
  - 2
...

	.end_amdgpu_metadata
